;; amdgpu-corpus repo=ggml-org/llama.cpp kind=compiled arch=gfx1100 opt=O3
	.text
	.amdgcn_target "amdgcn-amd-amdhsa--gfx1100"
	.amdhsa_code_object_version 6
	.section	.text._ZL18flash_attn_ext_vecILi64ELi1EL9ggml_type30ELS0_1ELb0EEvPKcS2_S2_S2_S2_PKiPfP15HIP_vector_typeIfLj2EEffffjfiS6_IjLj3EEiiiiiiiiiiiliiliiiiil,"axG",@progbits,_ZL18flash_attn_ext_vecILi64ELi1EL9ggml_type30ELS0_1ELb0EEvPKcS2_S2_S2_S2_PKiPfP15HIP_vector_typeIfLj2EEffffjfiS6_IjLj3EEiiiiiiiiiiiliiliiiiil,comdat
	.globl	_ZL18flash_attn_ext_vecILi64ELi1EL9ggml_type30ELS0_1ELb0EEvPKcS2_S2_S2_S2_PKiPfP15HIP_vector_typeIfLj2EEffffjfiS6_IjLj3EEiiiiiiiiiiiliiliiiiil ; -- Begin function _ZL18flash_attn_ext_vecILi64ELi1EL9ggml_type30ELS0_1ELb0EEvPKcS2_S2_S2_S2_PKiPfP15HIP_vector_typeIfLj2EEffffjfiS6_IjLj3EEiiiiiiiiiiiliiliiiiil
	.p2align	8
	.type	_ZL18flash_attn_ext_vecILi64ELi1EL9ggml_type30ELS0_1ELb0EEvPKcS2_S2_S2_S2_PKiPfP15HIP_vector_typeIfLj2EEffffjfiS6_IjLj3EEiiiiiiiiiiiliiliiiiil,@function
_ZL18flash_attn_ext_vecILi64ELi1EL9ggml_type30ELS0_1ELb0EEvPKcS2_S2_S2_S2_PKiPfP15HIP_vector_typeIfLj2EEffffjfiS6_IjLj3EEiiiiiiiiiiiliiliiiiil: ; @_ZL18flash_attn_ext_vecILi64ELi1EL9ggml_type30ELS0_1ELb0EEvPKcS2_S2_S2_S2_PKiPfP15HIP_vector_typeIfLj2EEffffjfiS6_IjLj3EEiiiiiiiiiiiliiliiiiil
; %bb.0:
	s_clause 0x3
	s_load_b64 s[34:35], s[0:1], 0x64
	s_load_b64 s[42:43], s[0:1], 0x80
	;; [unrolled: 1-line block ×3, first 2 shown]
	s_load_b128 s[36:39], s[0:1], 0x40
	v_mov_b32_e32 v16, 1.0
	s_waitcnt lgkmcnt(0)
	v_cvt_f32_u32_e32 v1, s35
	s_sub_i32 s3, 0, s35
	s_delay_alu instid0(VALU_DEP_1) | instskip(SKIP_2) | instid1(VALU_DEP_1)
	v_rcp_iflag_f32_e32 v1, v1
	s_waitcnt_depctr 0xfff
	v_mul_f32_e32 v1, 0x4f7ffffe, v1
	v_cvt_u32_f32_e32 v1, v1
	s_delay_alu instid0(VALU_DEP_1) | instskip(NEXT) | instid1(VALU_DEP_1)
	v_readfirstlane_b32 s2, v1
	s_mul_i32 s3, s3, s2
	s_delay_alu instid0(SALU_CYCLE_1) | instskip(NEXT) | instid1(SALU_CYCLE_1)
	s_mul_hi_u32 s3, s2, s3
	s_add_i32 s2, s2, s3
	s_delay_alu instid0(SALU_CYCLE_1) | instskip(NEXT) | instid1(SALU_CYCLE_1)
	s_mul_hi_u32 s2, s15, s2
	s_mul_i32 s3, s2, s35
	s_add_i32 s6, s2, 1
	s_sub_i32 s3, s15, s3
	s_delay_alu instid0(SALU_CYCLE_1)
	s_sub_i32 s7, s3, s35
	s_cmp_ge_u32 s3, s35
	s_cselect_b32 s2, s6, s2
	s_cselect_b32 s3, s7, s3
	s_add_i32 s6, s2, 1
	s_cmp_ge_u32 s3, s35
	s_cselect_b32 s12, s6, s2
	s_abs_i32 s2, s43
	s_abs_i32 s8, s35
	v_cvt_f32_u32_e32 v1, s2
	s_sub_i32 s6, 0, s2
	s_xor_b32 s7, s35, s43
	s_delay_alu instid0(SALU_CYCLE_1) | instskip(NEXT) | instid1(VALU_DEP_1)
	s_ashr_i32 s7, s7, 31
	v_rcp_iflag_f32_e32 v1, v1
	s_waitcnt_depctr 0xfff
	v_mul_f32_e32 v1, 0x4f7ffffe, v1
	s_delay_alu instid0(VALU_DEP_1) | instskip(NEXT) | instid1(VALU_DEP_1)
	v_cvt_u32_f32_e32 v1, v1
	v_readfirstlane_b32 s3, v1
	s_delay_alu instid0(VALU_DEP_1) | instskip(NEXT) | instid1(SALU_CYCLE_1)
	s_mul_i32 s6, s6, s3
	s_mul_hi_u32 s6, s3, s6
	s_delay_alu instid0(SALU_CYCLE_1) | instskip(SKIP_4) | instid1(SALU_CYCLE_1)
	s_add_i32 s3, s3, s6
	s_mul_i32 s6, s12, s35
	s_mul_hi_u32 s3, s8, s3
	s_sub_i32 s40, s15, s6
	s_mul_i32 s9, s3, s2
	s_sub_i32 s6, s8, s9
	s_add_i32 s8, s3, 1
	s_sub_i32 s9, s6, s2
	s_cmp_ge_u32 s6, s2
	s_cselect_b32 s3, s8, s3
	s_cselect_b32 s6, s9, s6
	s_add_i32 s8, s3, 1
	s_cmp_ge_u32 s6, s2
	s_cselect_b32 s2, s8, s3
	s_abs_i32 s15, s4
	s_xor_b32 s2, s2, s7
	v_cvt_f32_u32_e32 v1, s15
	s_sub_i32 s7, s2, s7
	s_load_b32 s2, s[0:1], 0x50
	s_abs_i32 s6, s7
	v_cmp_le_f32_e64 s3, s37, 0
	v_cvt_f32_u32_e32 v2, s6
	v_rcp_iflag_f32_e32 v1, v1
	s_delay_alu instid0(VALU_DEP_2) | instskip(NEXT) | instid1(VALU_DEP_1)
	s_and_b32 vcc_lo, exec_lo, s3
	v_rcp_iflag_f32_e32 v2, v2
	s_waitcnt_depctr 0xfff
	v_dual_mul_f32 v1, 0x4f7ffffe, v1 :: v_dual_mul_f32 v2, 0x4f7ffffe, v2
	s_delay_alu instid0(VALU_DEP_1) | instskip(NEXT) | instid1(VALU_DEP_2)
	v_cvt_u32_f32_e32 v1, v1
	v_cvt_u32_f32_e32 v2, v2
	s_delay_alu instid0(VALU_DEP_2) | instskip(NEXT) | instid1(VALU_DEP_2)
	v_readfirstlane_b32 s33, v1
	v_readfirstlane_b32 s37, v2
	s_cbranch_vccnz .LBB0_2
; %bb.1:
	s_waitcnt lgkmcnt(0)
	s_sub_i32 s3, s40, s2
	s_add_i32 s4, s40, 1
	s_lshl_b32 s3, s3, 1
	v_mov_b32_e32 v1, s38
	s_or_b32 s3, s3, 1
	s_cmp_lt_u32 s40, s2
	s_cselect_b32 vcc_lo, -1, 0
	s_delay_alu instid0(VALU_DEP_1)
	v_cndmask_b32_e32 v3, s39, v1, vcc_lo
	s_and_b32 s2, vcc_lo, exec_lo
	s_cselect_b32 s2, s4, s3
	s_mov_b32 s3, 0x3e76c4e1
	v_cvt_f32_i32_e32 v1, s2
	v_cmp_neq_f32_e32 vcc_lo, 1.0, v3
	s_delay_alu instid0(VALU_DEP_2) | instskip(NEXT) | instid1(VALU_DEP_1)
	v_cndmask_b32_e32 v4, 1.0, v1, vcc_lo
	v_cmp_eq_f32_e32 vcc_lo, 0, v4
	v_cndmask_b32_e64 v5, |v3|, 1.0, vcc_lo
	s_delay_alu instid0(VALU_DEP_1) | instskip(NEXT) | instid1(VALU_DEP_1)
	v_frexp_mant_f32_e32 v1, v5
	v_cmp_gt_f32_e64 s2, 0x3f2aaaab, v1
	s_delay_alu instid0(VALU_DEP_1) | instskip(NEXT) | instid1(VALU_DEP_1)
	v_cndmask_b32_e64 v2, 1.0, 2.0, s2
	v_mul_f32_e32 v1, v1, v2
	s_delay_alu instid0(VALU_DEP_1) | instskip(SKIP_1) | instid1(VALU_DEP_2)
	v_add_f32_e32 v2, 1.0, v1
	v_add_f32_e32 v7, -1.0, v1
	v_rcp_f32_e32 v6, v2
	s_waitcnt_depctr 0xfff
	v_mul_f32_e32 v8, v7, v6
	s_delay_alu instid0(VALU_DEP_1) | instskip(NEXT) | instid1(VALU_DEP_1)
	v_dual_add_f32 v9, -1.0, v2 :: v_dual_mul_f32 v10, v2, v8
	v_sub_f32_e32 v1, v1, v9
	v_cndmask_b32_e64 v3, v3, 1.0, vcc_lo
	s_delay_alu instid0(VALU_DEP_3) | instskip(NEXT) | instid1(VALU_DEP_2)
	v_fma_f32 v2, v8, v2, -v10
	v_cmp_eq_f32_e64 s4, 0, v3
	s_delay_alu instid0(VALU_DEP_2) | instskip(NEXT) | instid1(VALU_DEP_1)
	v_fmac_f32_e32 v2, v8, v1
	v_add_f32_e32 v1, v10, v2
	s_delay_alu instid0(VALU_DEP_1) | instskip(NEXT) | instid1(VALU_DEP_1)
	v_dual_sub_f32 v10, v1, v10 :: v_dual_sub_f32 v9, v7, v1
	v_dual_sub_f32 v2, v10, v2 :: v_dual_sub_f32 v7, v7, v9
	s_delay_alu instid0(VALU_DEP_1) | instskip(NEXT) | instid1(VALU_DEP_1)
	v_sub_f32_e32 v1, v7, v1
	v_add_f32_e32 v1, v2, v1
	s_delay_alu instid0(VALU_DEP_1) | instskip(NEXT) | instid1(VALU_DEP_1)
	v_add_f32_e32 v1, v9, v1
	v_mul_f32_e32 v1, v6, v1
	s_delay_alu instid0(VALU_DEP_1) | instskip(NEXT) | instid1(VALU_DEP_1)
	v_add_f32_e32 v6, v8, v1
	v_sub_f32_e32 v2, v6, v8
	v_mul_f32_e32 v7, v6, v6
	s_delay_alu instid0(VALU_DEP_2) | instskip(NEXT) | instid1(VALU_DEP_2)
	v_sub_f32_e32 v8, v1, v2
	v_fma_f32 v9, v6, v6, -v7
	s_delay_alu instid0(VALU_DEP_2) | instskip(NEXT) | instid1(VALU_DEP_1)
	v_add_f32_e32 v1, v8, v8
	v_fmac_f32_e32 v9, v6, v1
	v_cvt_f64_f32_e32 v[1:2], v5
	s_delay_alu instid0(VALU_DEP_2) | instskip(NEXT) | instid1(VALU_DEP_1)
	v_add_f32_e32 v10, v7, v9
	v_fmaak_f32 v11, s3, v10, 0x3e91f4c4
	v_sub_f32_e32 v7, v10, v7
	v_mul_f32_e32 v14, v6, v10
	s_delay_alu instid0(VALU_DEP_3) | instskip(NEXT) | instid1(VALU_DEP_3)
	v_fmaak_f32 v11, v10, v11, 0x3ecccdef
	v_sub_f32_e32 v7, v9, v7
	s_delay_alu instid0(VALU_DEP_2) | instskip(NEXT) | instid1(VALU_DEP_1)
	v_mul_f32_e32 v12, v10, v11
	v_fma_f32 v9, v10, v11, -v12
	s_delay_alu instid0(VALU_DEP_1) | instskip(NEXT) | instid1(VALU_DEP_1)
	v_fmac_f32_e32 v9, v7, v11
	v_add_f32_e32 v11, v12, v9
	v_frexp_exp_i32_f64_e32 v1, v[1:2]
	s_delay_alu instid0(VALU_DEP_2) | instskip(NEXT) | instid1(VALU_DEP_1)
	v_sub_f32_e32 v12, v11, v12
	v_sub_f32_e32 v2, v9, v12
	v_fma_f32 v12, v10, v6, -v14
	s_delay_alu instid0(VALU_DEP_2) | instskip(NEXT) | instid1(VALU_DEP_2)
	v_add_f32_e32 v2, 0x31739010, v2
	v_dual_add_f32 v13, 0x3f2aaaaa, v11 :: v_dual_fmac_f32 v12, v10, v8
	v_ldexp_f32 v8, v8, 1
	s_delay_alu instid0(VALU_DEP_2) | instskip(NEXT) | instid1(VALU_DEP_1)
	v_dual_add_f32 v9, 0xbf2aaaaa, v13 :: v_dual_fmac_f32 v12, v7, v6
	v_sub_f32_e32 v9, v11, v9
	s_delay_alu instid0(VALU_DEP_1) | instskip(NEXT) | instid1(VALU_DEP_3)
	v_add_f32_e32 v2, v2, v9
	v_add_f32_e32 v9, v14, v12
	s_delay_alu instid0(VALU_DEP_2) | instskip(NEXT) | instid1(VALU_DEP_1)
	v_add_f32_e32 v7, v13, v2
	v_sub_f32_e32 v10, v13, v7
	s_delay_alu instid0(VALU_DEP_3) | instskip(SKIP_2) | instid1(VALU_DEP_4)
	v_mul_f32_e32 v11, v9, v7
	v_sub_f32_e32 v13, v9, v14
	v_subrev_co_ci_u32_e64 v1, s2, 0, v1, s2
	v_add_f32_e32 v2, v2, v10
	s_delay_alu instid0(VALU_DEP_4) | instskip(NEXT) | instid1(VALU_DEP_4)
	v_fma_f32 v10, v9, v7, -v11
	v_sub_f32_e32 v12, v12, v13
	s_delay_alu instid0(VALU_DEP_4) | instskip(NEXT) | instid1(VALU_DEP_3)
	v_cvt_f32_i32_e32 v1, v1
	v_fmac_f32_e32 v10, v9, v2
	v_ldexp_f32 v2, v6, 1
	s_delay_alu instid0(VALU_DEP_2) | instskip(NEXT) | instid1(VALU_DEP_1)
	v_fmac_f32_e32 v10, v12, v7
	v_add_f32_e32 v6, v11, v10
	s_delay_alu instid0(VALU_DEP_1) | instskip(NEXT) | instid1(VALU_DEP_1)
	v_add_f32_e32 v7, v2, v6
	v_dual_sub_f32 v2, v7, v2 :: v_dual_sub_f32 v9, v6, v11
	s_delay_alu instid0(VALU_DEP_1) | instskip(NEXT) | instid1(VALU_DEP_2)
	v_sub_f32_e32 v2, v6, v2
	v_sub_f32_e32 v9, v10, v9
	s_delay_alu instid0(VALU_DEP_1) | instskip(NEXT) | instid1(VALU_DEP_1)
	v_add_f32_e32 v6, v8, v9
	v_dual_mul_f32 v11, 0x3f317218, v1 :: v_dual_add_f32 v2, v6, v2
	s_delay_alu instid0(VALU_DEP_1) | instskip(NEXT) | instid1(VALU_DEP_2)
	v_fma_f32 v10, 0x3f317218, v1, -v11
	v_add_f32_e32 v8, v7, v2
	s_delay_alu instid0(VALU_DEP_1) | instskip(NEXT) | instid1(VALU_DEP_1)
	v_sub_f32_e32 v7, v8, v7
	v_dual_fmamk_f32 v1, v1, 0xb102e308, v10 :: v_dual_sub_f32 v2, v2, v7
	s_delay_alu instid0(VALU_DEP_1) | instskip(NEXT) | instid1(VALU_DEP_1)
	v_add_f32_e32 v6, v11, v1
	v_add_f32_e32 v9, v6, v8
	s_delay_alu instid0(VALU_DEP_1) | instskip(NEXT) | instid1(VALU_DEP_1)
	v_dual_sub_f32 v11, v6, v11 :: v_dual_sub_f32 v10, v9, v6
	v_sub_f32_e32 v12, v9, v10
	s_delay_alu instid0(VALU_DEP_2) | instskip(NEXT) | instid1(VALU_DEP_2)
	v_sub_f32_e32 v1, v1, v11
	v_dual_sub_f32 v7, v8, v10 :: v_dual_sub_f32 v6, v6, v12
	s_delay_alu instid0(VALU_DEP_2) | instskip(NEXT) | instid1(VALU_DEP_2)
	v_add_f32_e32 v8, v1, v2
	v_add_f32_e32 v6, v7, v6
	s_delay_alu instid0(VALU_DEP_1) | instskip(NEXT) | instid1(VALU_DEP_1)
	v_add_f32_e32 v6, v8, v6
	v_dual_sub_f32 v7, v8, v1 :: v_dual_add_f32 v10, v9, v6
	s_delay_alu instid0(VALU_DEP_1) | instskip(SKIP_1) | instid1(VALU_DEP_3)
	v_sub_f32_e32 v8, v8, v7
	v_sub_f32_e32 v2, v2, v7
	;; [unrolled: 1-line block ×3, first 2 shown]
	s_delay_alu instid0(VALU_DEP_3) | instskip(NEXT) | instid1(VALU_DEP_1)
	v_sub_f32_e32 v1, v1, v8
	v_add_f32_e32 v1, v2, v1
	s_delay_alu instid0(VALU_DEP_3) | instskip(NEXT) | instid1(VALU_DEP_1)
	v_sub_f32_e32 v2, v6, v7
	v_add_f32_e32 v1, v1, v2
	s_delay_alu instid0(VALU_DEP_1) | instskip(NEXT) | instid1(VALU_DEP_1)
	v_add_f32_e32 v2, v10, v1
	v_mul_f32_e32 v7, v4, v2
	v_sub_f32_e32 v6, v2, v10
	s_delay_alu instid0(VALU_DEP_2) | instskip(NEXT) | instid1(VALU_DEP_2)
	v_fma_f32 v2, v4, v2, -v7
	v_sub_f32_e32 v1, v1, v6
	v_cmp_class_f32_e64 s2, v7, 0x204
	s_delay_alu instid0(VALU_DEP_2) | instskip(NEXT) | instid1(VALU_DEP_1)
	v_fmac_f32_e32 v2, v4, v1
	v_add_f32_e32 v1, v7, v2
	s_delay_alu instid0(VALU_DEP_1) | instskip(NEXT) | instid1(VALU_DEP_1)
	v_cndmask_b32_e64 v6, v1, v7, s2
	v_cmp_eq_f32_e64 s2, 0x42b17218, v6
	s_delay_alu instid0(VALU_DEP_1) | instskip(SKIP_1) | instid1(VALU_DEP_2)
	v_cndmask_b32_e64 v8, 0, 0x37000000, s2
	v_cmp_neq_f32_e64 s2, 0x7f800000, |v6|
	v_sub_f32_e32 v9, v6, v8
	v_trunc_f32_e32 v6, v4
	s_delay_alu instid0(VALU_DEP_2) | instskip(NEXT) | instid1(VALU_DEP_1)
	v_mul_f32_e32 v10, 0x3fb8aa3b, v9
	v_fma_f32 v11, 0x3fb8aa3b, v9, -v10
	v_rndne_f32_e32 v12, v10
	s_delay_alu instid0(VALU_DEP_1) | instskip(NEXT) | instid1(VALU_DEP_1)
	v_dual_fmamk_f32 v11, v9, 0x32a5705f, v11 :: v_dual_sub_f32 v10, v10, v12
	v_add_f32_e32 v10, v10, v11
	v_sub_f32_e32 v1, v1, v7
	v_cvt_i32_f32_e32 v7, v12
	s_delay_alu instid0(VALU_DEP_3) | instskip(NEXT) | instid1(VALU_DEP_2)
	v_exp_f32_e32 v10, v10
	v_sub_f32_e32 v1, v2, v1
	s_delay_alu instid0(VALU_DEP_1)
	v_cndmask_b32_e64 v1, 0, v1, s2
	v_cmp_ngt_f32_e64 s2, 0xc2ce8ed0, v9
	s_waitcnt_depctr 0xfff
	v_ldexp_f32 v2, v10, v7
	v_mul_f32_e32 v7, 0.5, v4
	v_add_f32_e32 v1, v8, v1
	s_delay_alu instid0(VALU_DEP_3) | instskip(NEXT) | instid1(VALU_DEP_3)
	v_cndmask_b32_e64 v2, 0, v2, s2
	v_trunc_f32_e32 v10, v7
	v_cmp_nlt_f32_e64 s2, 0x42b17218, v9
	s_delay_alu instid0(VALU_DEP_2) | instskip(NEXT) | instid1(VALU_DEP_2)
	v_cmp_neq_f32_e64 s3, v10, v7
	v_cndmask_b32_e64 v2, 0x7f800000, v2, s2
	v_cmp_eq_f32_e64 s2, v6, v4
	s_delay_alu instid0(VALU_DEP_2) | instskip(NEXT) | instid1(VALU_DEP_2)
	v_fma_f32 v1, v2, v1, v2
	s_and_b32 vcc_lo, s2, s3
	v_cmp_class_f32_e64 s3, v2, 0x204
	v_cndmask_b32_e32 v6, 1.0, v3, vcc_lo
	s_delay_alu instid0(VALU_DEP_2) | instskip(SKIP_1) | instid1(VALU_DEP_2)
	v_cndmask_b32_e64 v1, v1, v2, s3
	v_cmp_gt_f32_e64 s3, 0, v4
	v_bfi_b32 v1, 0x7fffffff, v1, v6
	s_delay_alu instid0(VALU_DEP_2)
	s_xor_b32 s3, s3, s4
	v_cndmask_b32_e32 v6, 0, v3, vcc_lo
	v_cndmask_b32_e64 v2, 0x7f800000, 0, s3
	v_cmp_eq_f32_e32 vcc_lo, 0x7f800000, v5
	v_cndmask_b32_e64 v4, 0x7fc00000, v1, s2
	v_cmp_gt_f32_e64 s2, 0, v3
	s_delay_alu instid0(VALU_DEP_4) | instskip(SKIP_1) | instid1(VALU_DEP_2)
	v_bfi_b32 v2, 0x7fffffff, v2, v6
	s_or_b32 vcc_lo, vcc_lo, s4
	v_cndmask_b32_e64 v1, v1, v4, s2
	s_delay_alu instid0(VALU_DEP_1) | instskip(SKIP_1) | instid1(VALU_DEP_2)
	v_cndmask_b32_e32 v1, v1, v2, vcc_lo
	v_cmp_o_f32_e32 vcc_lo, v3, v3
	v_cndmask_b32_e32 v16, 0x7fc00000, v1, vcc_lo
.LBB0_2:
	s_clause 0x1
	s_load_b128 s[8:11], s[0:1], 0x70
	s_load_b512 s[16:31], s[0:1], 0x0
	v_and_b32_e32 v15, 0x3ff, v0
	s_delay_alu instid0(VALU_DEP_1) | instskip(NEXT) | instid1(VALU_DEP_1)
	v_lshlrev_b32_e32 v11, 2, v15
	v_and_b32_e32 v12, 28, v11
	s_delay_alu instid0(VALU_DEP_1)
	v_lshlrev_b32_e32 v5, 3, v12
	s_waitcnt lgkmcnt(0)
	s_mul_i32 s2, s12, s10
	s_mul_i32 s3, s13, s8
	s_mul_i32 s4, s40, s9
	s_add_i32 s2, s2, s3
	s_delay_alu instid0(SALU_CYCLE_1) | instskip(NEXT) | instid1(SALU_CYCLE_1)
	s_add_i32 s2, s2, s4
	s_ashr_i32 s3, s2, 31
	s_add_u32 s2, s16, s2
	s_addc_u32 s3, s17, s3
	s_clause 0x1
	global_load_b128 v[1:4], v5, s[2:3] offset:16
	global_load_b128 v[5:8], v5, s[2:3]
	s_cmp_eq_u64 s[26:27], 0
	s_cbranch_scc1 .LBB0_4
; %bb.3:
	s_load_b32 s2, s[0:1], 0xd0
	s_mov_b32 s3, 0
	s_waitcnt lgkmcnt(0)
	s_mul_i32 s2, s2, s12
	s_delay_alu instid0(SALU_CYCLE_1) | instskip(NEXT) | instid1(SALU_CYCLE_1)
	s_add_i32 s2, s2, s13
	s_lshl_b64 s[2:3], s[2:3], 2
	s_delay_alu instid0(SALU_CYCLE_1)
	s_add_u32 s2, s26, s2
	s_addc_u32 s3, s27, s3
	s_load_b32 s42, s[2:3], 0x0
.LBB0_4:
	v_bfe_u32 v13, v0, 10, 10
	v_mbcnt_lo_u32_b32 v14, -1, 0
	s_lshl_b32 s16, s14, 7
	s_mov_b32 s17, 0
	s_waitcnt lgkmcnt(0)
	s_cmp_ge_i32 s16, s42
	v_dual_mov_b32 v23, 0 :: v_dual_lshlrev_b32 v0, 5, v13
	s_delay_alu instid0(VALU_DEP_1) | instskip(NEXT) | instid1(VALU_DEP_1)
	v_add_nc_u32_e32 v9, v0, v15
	v_lshlrev_b32_e32 v10, 1, v9
	s_cbranch_scc1 .LBB0_24
; %bb.5:
	s_waitcnt vmcnt(0)
	v_cvt_f16_f32_e32 v5, v5
	v_cvt_f16_f32_e32 v6, v6
	;; [unrolled: 1-line block ×7, first 2 shown]
	v_pack_b32_f16 v5, v5, v6
	v_pack_b32_f16 v6, v7, v8
	s_clause 0x1
	s_load_b64 s[38:39], s[0:1], 0x8c
	s_load_b128 s[8:11], s[0:1], 0x98
	v_pack_b32_f16 v1, v1, v2
	v_cvt_f16_f32_e32 v2, v3
	v_cvt_f16_f32_e32 v3, v4
	v_and_b32_e32 v4, 0x78, v15
	v_xor_b32_e32 v20, 1, v14
	v_pk_mul_f16 v1, v17, v1 op_sel_hi:[0,1]
	v_and_b32_e32 v18, 24, v14
	v_pack_b32_f16 v2, v2, v3
	v_pk_mul_f16 v3, v17, v5 op_sel_hi:[0,1]
	v_pk_mul_f16 v5, v17, v6 op_sel_hi:[0,1]
	v_lshrrev_b32_e32 v8, 16, v1
	v_xor_b32_e32 v19, 2, v14
	v_xor_b32_e32 v26, 16, v14
	v_lshrrev_b32_e32 v6, 16, v3
	v_lshrrev_b32_e32 v7, 16, v5
	v_add_nc_u32_e32 v22, v0, v4
	s_sub_i32 s2, 0, s6
	s_sub_i32 s3, 0, s15
	v_cvt_f32_f16_e32 v4, v6
	v_cvt_f32_f16_e32 v6, v7
	v_cvt_f32_f16_e32 v7, v1
	v_add_nc_u32_e32 v1, 8, v18
	v_xor_b32_e32 v18, 4, v14
	s_mul_i32 s2, s2, s37
	s_mul_i32 s3, s3, s33
	v_pk_mul_f16 v2, v17, v2 op_sel_hi:[0,1]
	s_mul_hi_u32 s2, s37, s2
	v_cmp_lt_i32_e32 vcc_lo, v18, v1
	s_mul_hi_u32 s3, s33, s3
	s_add_i32 s37, s37, s2
	s_abs_i32 s26, s12
	s_add_i32 s33, s33, s3
	s_ashr_i32 s43, s12, 31
	s_waitcnt lgkmcnt(0)
	s_mul_i32 s2, s12, s9
	s_mul_hi_u32 s3, s12, s8
	v_cvt_f32_f16_e32 v17, v2
	v_lshrrev_b32_e32 v2, 16, v2
	v_cndmask_b32_e32 v21, v14, v18, vcc_lo
	v_cmp_lt_i32_e32 vcc_lo, v19, v1
	s_mul_hi_u32 s41, s26, s33
	s_add_i32 s33, s3, s2
	s_mul_i32 s2, s43, s8
	s_abs_i32 s4, s40
	v_cndmask_b32_e32 v24, v14, v19, vcc_lo
	s_add_i32 s33, s33, s2
	s_load_b64 s[2:3], s[0:1], 0xa8
	v_cmp_lt_i32_e32 vcc_lo, v20, v1
	v_cvt_f32_f16_e32 v18, v2
	v_xor_b32_e32 v2, 8, v14
	s_mul_hi_u32 s27, s4, s37
	s_ashr_i32 s37, s40, 31
	s_mul_i32 s9, s27, s6
	s_ashr_i32 s7, s7, 31
	s_sub_i32 s4, s4, s9
	v_cndmask_b32_e32 v1, v14, v20, vcc_lo
	v_cmp_gt_i32_e32 vcc_lo, 32, v2
	s_xor_b32 s7, s37, s7
	s_add_i32 s9, s27, 1
	s_sub_i32 s36, s4, s6
	s_cmp_ge_u32 s4, s6
	v_dual_cndmask_b32 v2, v14, v2 :: v_dual_lshlrev_b32 v19, 2, v21
	s_cselect_b32 s9, s9, s27
	v_cmp_gt_i32_e32 vcc_lo, 32, v26
	s_cselect_b32 s4, s36, s4
	s_add_i32 s27, s9, 1
	s_cmp_ge_u32 s4, s6
	s_waitcnt lgkmcnt(0)
	s_mul_i32 s3, s12, s3
	s_cselect_b32 s4, s27, s9
	v_cndmask_b32_e32 v27, v14, v26, vcc_lo
	v_mul_lo_u32 v23, v22, s38
	s_xor_b32 s4, s4, s7
	s_mul_hi_u32 s27, s12, s2
	s_sub_i32 s4, s4, s7
	s_clause 0x1
	s_load_b64 s[6:7], s[0:1], 0xc8
	s_load_b32 s9, s[0:1], 0xd4
	s_add_i32 s3, s27, s3
	s_mul_i32 s27, s43, s2
	s_mul_i32 s41, s41, s15
	;; [unrolled: 1-line block ×3, first 2 shown]
	s_add_i32 s39, s3, s27
	s_mul_i32 s44, s4, s11
	s_sub_i32 s3, s26, s41
	v_add_nc_u32_e32 v25, s38, v23
	s_ashr_i32 s37, s36, 31
	s_ashr_i32 s41, s44, 31
	s_sub_i32 s4, s3, s15
	s_cmp_ge_u32 s3, s15
	v_lshlrev_b32_e32 v20, 2, v24
	s_cselect_b32 s3, s4, s3
	v_lshlrev_b32_e32 v26, 2, v2
	v_mov_b32_e32 v2, 0
	v_add_nc_u32_e32 v24, s38, v25
	s_sub_i32 s4, s3, s15
	s_cmp_ge_u32 s3, s15
	s_mul_i32 s15, s12, s8
	s_cselect_b32 s3, s4, s3
	v_add_nc_u32_e32 v52, s38, v24
	s_xor_b32 s3, s3, s43
	s_mul_i32 s47, s13, s5
	s_sub_i32 s3, s3, s43
	s_ashr_i32 s48, s47, 31
	s_waitcnt lgkmcnt(0)
	s_mul_i32 s4, s3, s7
	s_mul_hi_u32 s7, s3, s6
	s_ashr_i32 s8, s3, 31
	v_add_nc_u32_e32 v46, s38, v52
	s_add_i32 s4, s7, s4
	s_mul_i32 s8, s8, s6
	s_mul_i32 s50, s16, s38
	s_add_i32 s45, s4, s8
	s_cmp_lg_u64 s[22:23], 0
	v_add_nc_u32_e32 v40, s38, v46
	s_cselect_b32 s11, -1, 0
	s_lshl_b32 s26, s9, 7
	s_add_u32 s50, s18, s50
	s_addc_u32 s51, s19, 0
	v_add_nc_u32_e32 v33, s38, v40
	s_add_u32 s18, s50, s36
	v_dual_mov_b32 v62, 0xfeffffff :: v_dual_lshlrev_b32 v21, 2, v1
	v_and_b32_e32 v1, 7, v15
	s_addc_u32 s19, s51, s37
	s_add_u32 s52, s18, s15
	s_mul_i32 s46, s3, s6
	s_addc_u32 s53, s19, s33
	s_lshl_b64 s[18:19], s[16:17], 1
	s_mov_b32 s27, s17
	v_add_nc_u32_e32 v30, s38, v33
	s_add_u32 s17, s46, s18
	s_mul_i32 s43, s12, s2
	v_cmp_eq_u32_e64 s2, 7, v1
	v_cmp_eq_u32_e64 s3, 0, v1
	;; [unrolled: 1-line block ×8, first 2 shown]
	v_lshlrev_b32_e32 v29, 4, v1
	s_addc_u32 s18, s45, s19
	v_lshlrev_b32_e32 v1, 1, v22
	s_add_u32 s19, s22, s47
	s_addc_u32 s22, s23, s48
	s_add_u32 s17, s19, s17
	v_ashrrev_i32_e32 v31, 31, v30
	v_lshrrev_b32_e32 v32, 3, v15
	s_addc_u32 s18, s22, s18
	v_add_co_u32 v1, s17, s17, v1
	v_add_co_u32 v30, vcc_lo, s52, v30
	v_add_co_ci_u32_e64 v22, null, s18, 0, s17
	v_add_co_ci_u32_e32 v31, vcc_lo, s53, v31, vcc_lo
	v_ashrrev_i32_e32 v34, 31, v33
	v_or_b32_e32 v28, v0, v32
	v_add_nc_u32_e32 v48, v32, v0
	v_add_co_u32 v0, vcc_lo, v1, 14
	v_add_co_ci_u32_e32 v1, vcc_lo, 0, v22, vcc_lo
	v_add_co_u32 v32, vcc_lo, s52, v33
	v_add_co_ci_u32_e32 v33, vcc_lo, s53, v34, vcc_lo
	v_add_nc_u32_e32 v34, 4, v48
	v_mul_lo_u32 v22, s10, v48
	s_lshl_b64 s[18:19], s[26:27], 1
	v_add_nc_u32_e32 v37, 8, v48
	s_mul_i32 s49, s16, s10
	v_mul_lo_u32 v36, s10, v34
	s_add_u32 s17, s43, s44
	s_addc_u32 s22, s39, s41
	s_add_u32 s20, s20, s49
	s_addc_u32 s21, s21, 0
	v_ashrrev_i32_e32 v35, 31, v22
	s_add_u32 s17, s20, s17
	v_mul_lo_u32 v38, s10, v37
	s_addc_u32 s22, s21, s22
	v_add_co_u32 v34, vcc_lo, s17, v22
	s_add_u32 s17, s20, s44
	v_ashrrev_i32_e32 v22, 31, v36
	s_addc_u32 s20, s21, s41
	s_add_u32 s17, s17, s43
	v_add_co_ci_u32_e32 v35, vcc_lo, s22, v35, vcc_lo
	s_addc_u32 s20, s20, s39
	v_add_co_u32 v36, vcc_lo, s17, v36
	v_add_nc_u32_e32 v39, 12, v48
	v_add_co_ci_u32_e32 v37, vcc_lo, s20, v22, vcc_lo
	v_ashrrev_i32_e32 v22, 31, v38
	v_add_co_u32 v38, vcc_lo, s17, v38
	s_delay_alu instid0(VALU_DEP_4) | instskip(SKIP_1) | instid1(VALU_DEP_4)
	v_mul_lo_u32 v42, s10, v39
	v_ashrrev_i32_e32 v41, 31, v40
	v_add_co_ci_u32_e32 v39, vcc_lo, s20, v22, vcc_lo
	v_add_nc_u32_e32 v22, 16, v48
	v_add_nc_u32_e32 v44, 20, v48
	v_add_co_u32 v40, vcc_lo, s52, v40
	v_ashrrev_i32_e32 v43, 31, v42
	s_delay_alu instid0(VALU_DEP_4)
	v_mul_lo_u32 v22, s10, v22
	v_add_nc_u32_e32 v45, 24, v48
	v_add_co_ci_u32_e32 v41, vcc_lo, s53, v41, vcc_lo
	v_mul_lo_u32 v50, s10, v44
	v_add_co_u32 v42, vcc_lo, s17, v42
	v_add_co_ci_u32_e32 v43, vcc_lo, s20, v43, vcc_lo
	v_ashrrev_i32_e32 v49, 31, v22
	v_mul_lo_u32 v51, s10, v45
	v_add_co_u32 v44, vcc_lo, s17, v22
	v_add_nc_u32_e32 v22, 28, v48
	v_ashrrev_i32_e32 v47, 31, v46
	v_add_co_ci_u32_e32 v45, vcc_lo, s20, v49, vcc_lo
	v_add_co_u32 v46, vcc_lo, s52, v46
	v_ashrrev_i32_e32 v49, 31, v50
	v_mul_lo_u32 v22, s10, v22
	v_add_co_ci_u32_e32 v47, vcc_lo, s53, v47, vcc_lo
	v_ashrrev_i32_e32 v54, 31, v51
	v_add_co_u32 v48, vcc_lo, s17, v50
	v_add_co_ci_u32_e32 v49, vcc_lo, s20, v49, vcc_lo
	v_ashrrev_i32_e32 v53, 31, v52
	v_add_co_u32 v50, vcc_lo, s17, v51
	;; [unrolled: 3-line block ×3, first 2 shown]
	v_add_co_ci_u32_e32 v53, vcc_lo, s53, v53, vcc_lo
	s_add_u32 s15, s15, s36
	v_ashrrev_i32_e32 v57, 31, v23
	v_add_co_u32 v54, vcc_lo, s17, v22
	s_addc_u32 s17, s33, s37
	s_add_u32 s15, s50, s15
	v_add_co_ci_u32_e32 v55, vcc_lo, s20, v55, vcc_lo
	s_addc_u32 s17, s51, s17
	v_add_co_u32 v56, vcc_lo, s15, v23
	v_mov_b32_e32 v23, 0
	v_ashrrev_i32_e32 v59, 31, v24
	v_add_co_ci_u32_e32 v57, vcc_lo, s17, v57, vcc_lo
	v_ashrrev_i32_e32 v61, 31, v25
	v_add_co_u32 v58, vcc_lo, s52, v24
	v_mov_b32_e32 v24, 0
	v_add_co_ci_u32_e32 v59, vcc_lo, s53, v59, vcc_lo
	v_add_co_u32 v60, vcc_lo, s52, v25
	v_cvt_f32_f16_e32 v3, v3
	v_cvt_f32_f16_e32 v5, v5
	v_cvt_f32_f16_e32 v8, v8
	v_lshlrev_b32_e32 v27, 2, v27
	v_lshlrev_b32_e32 v28, 1, v28
	v_add_co_ci_u32_e32 v61, vcc_lo, s53, v61, vcc_lo
	v_dual_mov_b32 v25, 0 :: v_dual_mov_b32 v22, 0
	s_mul_i32 s15, s26, s38
	s_mul_i32 s10, s26, s10
                                        ; implicit-def: $vgpr63
.LBB0_6:                                ; =>This Inner Loop Header: Depth=1
	v_add_co_u32 v64, vcc_lo, v56, v29
	v_add_co_ci_u32_e32 v65, vcc_lo, 0, v57, vcc_lo
	s_and_b32 vcc_lo, exec_lo, s11
	global_load_b128 v[64:67], v[64:65], off
	s_waitcnt vmcnt(0)
	v_lshlrev_b32_e32 v68, 16, v64
	v_and_b32_e32 v64, 0xffff0000, v64
	s_delay_alu instid0(VALU_DEP_2) | instskip(NEXT) | instid1(VALU_DEP_1)
	v_fma_f32 v68, v3, v68, 0
	v_dual_fmac_f32 v68, v4, v64 :: v_dual_lshlrev_b32 v69, 16, v65
	v_and_b32_e32 v64, 0xffff0000, v65
	s_delay_alu instid0(VALU_DEP_2) | instskip(NEXT) | instid1(VALU_DEP_1)
	v_dual_fmac_f32 v68, v5, v69 :: v_dual_lshlrev_b32 v65, 16, v66
	v_fmac_f32_e32 v68, v6, v64
	v_and_b32_e32 v64, 0xffff0000, v66
	s_delay_alu instid0(VALU_DEP_2) | instskip(NEXT) | instid1(VALU_DEP_1)
	v_dual_fmac_f32 v68, v7, v65 :: v_dual_lshlrev_b32 v65, 16, v67
	v_fmac_f32_e32 v68, v8, v64
	v_and_b32_e32 v64, 0xffff0000, v67
	s_delay_alu instid0(VALU_DEP_2) | instskip(NEXT) | instid1(VALU_DEP_1)
	v_fmac_f32_e32 v68, v17, v65
	v_fmac_f32_e32 v68, v18, v64
	ds_bpermute_b32 v64, v19, v68
	s_waitcnt lgkmcnt(0)
	v_add_f32_e32 v64, v68, v64
	ds_bpermute_b32 v65, v20, v64
	s_waitcnt lgkmcnt(0)
	v_add_f32_e32 v64, v64, v65
	;; [unrolled: 3-line block ×3, first 2 shown]
	s_cbranch_vccz .LBB0_8
; %bb.7:                                ;   in Loop: Header=BB0_6 Depth=1
	global_load_u16 v65, v[0:1], off offset:-14
	s_waitcnt vmcnt(0)
	v_fma_mix_f32 v64, v16, v65, v64 op_sel_hi:[0,1,0]
.LBB0_8:                                ;   in Loop: Header=BB0_6 Depth=1
	v_add_co_u32 v65, vcc_lo, v60, v29
	v_add_co_ci_u32_e32 v66, vcc_lo, 0, v61, vcc_lo
	s_and_not1_b32 vcc_lo, exec_lo, s11
	global_load_b128 v[65:68], v[65:66], off
	s_waitcnt vmcnt(0)
	v_lshlrev_b32_e32 v69, 16, v65
	v_and_b32_e32 v65, 0xffff0000, v65
	s_delay_alu instid0(VALU_DEP_2) | instskip(NEXT) | instid1(VALU_DEP_1)
	v_fma_f32 v69, v3, v69, 0
	v_dual_fmac_f32 v69, v4, v65 :: v_dual_lshlrev_b32 v70, 16, v66
	v_and_b32_e32 v65, 0xffff0000, v66
	s_delay_alu instid0(VALU_DEP_2) | instskip(NEXT) | instid1(VALU_DEP_1)
	v_dual_fmac_f32 v69, v5, v70 :: v_dual_lshlrev_b32 v66, 16, v67
	v_fmac_f32_e32 v69, v6, v65
	v_and_b32_e32 v65, 0xffff0000, v67
	s_delay_alu instid0(VALU_DEP_2) | instskip(NEXT) | instid1(VALU_DEP_1)
	v_dual_fmac_f32 v69, v7, v66 :: v_dual_and_b32 v66, 0xffff0000, v68
	v_fmac_f32_e32 v69, v8, v65
	v_lshlrev_b32_e32 v65, 16, v68
	s_delay_alu instid0(VALU_DEP_1) | instskip(NEXT) | instid1(VALU_DEP_1)
	v_fmac_f32_e32 v69, v17, v65
	v_fmac_f32_e32 v69, v18, v66
	ds_bpermute_b32 v65, v19, v69
	s_waitcnt lgkmcnt(0)
	v_add_f32_e32 v65, v69, v65
	ds_bpermute_b32 v66, v20, v65
	s_waitcnt lgkmcnt(0)
	v_add_f32_e32 v65, v65, v66
	;; [unrolled: 3-line block ×3, first 2 shown]
	s_cbranch_vccnz .LBB0_10
; %bb.9:                                ;   in Loop: Header=BB0_6 Depth=1
	global_load_u16 v66, v[0:1], off offset:-12
	s_waitcnt vmcnt(0)
	v_fma_mix_f32 v65, v16, v66, v65 op_sel_hi:[0,1,0]
.LBB0_10:                               ;   in Loop: Header=BB0_6 Depth=1
	v_add_co_u32 v66, vcc_lo, v58, v29
	v_add_co_ci_u32_e32 v67, vcc_lo, 0, v59, vcc_lo
	s_and_not1_b32 vcc_lo, exec_lo, s11
	global_load_b128 v[66:69], v[66:67], off
	s_waitcnt vmcnt(0)
	v_lshlrev_b32_e32 v70, 16, v66
	v_and_b32_e32 v66, 0xffff0000, v66
	s_delay_alu instid0(VALU_DEP_2) | instskip(NEXT) | instid1(VALU_DEP_1)
	v_fma_f32 v70, v3, v70, 0
	v_dual_fmac_f32 v70, v4, v66 :: v_dual_lshlrev_b32 v71, 16, v67
	v_and_b32_e32 v66, 0xffff0000, v67
	s_delay_alu instid0(VALU_DEP_2) | instskip(NEXT) | instid1(VALU_DEP_1)
	v_dual_fmac_f32 v70, v5, v71 :: v_dual_lshlrev_b32 v67, 16, v68
	v_fmac_f32_e32 v70, v6, v66
	v_and_b32_e32 v66, 0xffff0000, v68
	s_delay_alu instid0(VALU_DEP_2) | instskip(NEXT) | instid1(VALU_DEP_1)
	v_dual_fmac_f32 v70, v7, v67 :: v_dual_and_b32 v67, 0xffff0000, v69
	v_fmac_f32_e32 v70, v8, v66
	v_lshlrev_b32_e32 v66, 16, v69
	s_delay_alu instid0(VALU_DEP_1) | instskip(NEXT) | instid1(VALU_DEP_1)
	v_fmac_f32_e32 v70, v17, v66
	v_fmac_f32_e32 v70, v18, v67
	ds_bpermute_b32 v66, v19, v70
	s_waitcnt lgkmcnt(0)
	v_add_f32_e32 v66, v70, v66
	ds_bpermute_b32 v67, v20, v66
	s_waitcnt lgkmcnt(0)
	v_add_f32_e32 v66, v66, v67
	ds_bpermute_b32 v67, v21, v66
	s_waitcnt lgkmcnt(0)
	v_add_f32_e32 v66, v66, v67
	s_cbranch_vccnz .LBB0_12
; %bb.11:                               ;   in Loop: Header=BB0_6 Depth=1
	global_load_u16 v67, v[0:1], off offset:-10
	s_waitcnt vmcnt(0)
	v_fma_mix_f32 v66, v16, v67, v66 op_sel_hi:[0,1,0]
.LBB0_12:                               ;   in Loop: Header=BB0_6 Depth=1
	v_add_co_u32 v67, vcc_lo, v52, v29
	v_add_co_ci_u32_e32 v68, vcc_lo, 0, v53, vcc_lo
	s_and_not1_b32 vcc_lo, exec_lo, s11
	global_load_b128 v[67:70], v[67:68], off
	s_waitcnt vmcnt(0)
	v_lshlrev_b32_e32 v71, 16, v67
	v_and_b32_e32 v67, 0xffff0000, v67
	s_delay_alu instid0(VALU_DEP_2) | instskip(NEXT) | instid1(VALU_DEP_1)
	v_fma_f32 v71, v3, v71, 0
	v_dual_fmac_f32 v71, v4, v67 :: v_dual_lshlrev_b32 v72, 16, v68
	v_and_b32_e32 v67, 0xffff0000, v68
	s_delay_alu instid0(VALU_DEP_2) | instskip(NEXT) | instid1(VALU_DEP_1)
	v_dual_fmac_f32 v71, v5, v72 :: v_dual_lshlrev_b32 v68, 16, v69
	v_fmac_f32_e32 v71, v6, v67
	v_and_b32_e32 v67, 0xffff0000, v69
	s_delay_alu instid0(VALU_DEP_2) | instskip(NEXT) | instid1(VALU_DEP_1)
	v_dual_fmac_f32 v71, v7, v68 :: v_dual_and_b32 v68, 0xffff0000, v70
	v_fmac_f32_e32 v71, v8, v67
	v_lshlrev_b32_e32 v67, 16, v70
	s_delay_alu instid0(VALU_DEP_1) | instskip(NEXT) | instid1(VALU_DEP_1)
	v_fmac_f32_e32 v71, v17, v67
	v_fmac_f32_e32 v71, v18, v68
	ds_bpermute_b32 v67, v19, v71
	s_waitcnt lgkmcnt(0)
	v_add_f32_e32 v67, v71, v67
	ds_bpermute_b32 v68, v20, v67
	s_waitcnt lgkmcnt(0)
	v_add_f32_e32 v67, v67, v68
	ds_bpermute_b32 v68, v21, v67
	s_waitcnt lgkmcnt(0)
	v_add_f32_e32 v67, v67, v68
	s_cbranch_vccnz .LBB0_14
; %bb.13:                               ;   in Loop: Header=BB0_6 Depth=1
	global_load_u16 v68, v[0:1], off offset:-8
	s_waitcnt vmcnt(0)
	v_fma_mix_f32 v67, v16, v68, v67 op_sel_hi:[0,1,0]
.LBB0_14:                               ;   in Loop: Header=BB0_6 Depth=1
	;; [unrolled: 37-line block ×5, first 2 shown]
	v_add_co_u32 v71, vcc_lo, v30, v29
	v_add_co_ci_u32_e32 v72, vcc_lo, 0, v31, vcc_lo
	s_and_not1_b32 vcc_lo, exec_lo, s11
	global_load_b128 v[71:74], v[71:72], off
	s_waitcnt vmcnt(0)
	v_lshlrev_b32_e32 v75, 16, v71
	v_and_b32_e32 v71, 0xffff0000, v71
	s_delay_alu instid0(VALU_DEP_2) | instskip(NEXT) | instid1(VALU_DEP_1)
	v_fma_f32 v75, v75, v3, 0
	v_fmac_f32_e32 v75, v71, v4
	v_and_b32_e32 v71, 0xffff0000, v72
	v_lshlrev_b32_e32 v76, 16, v72
	v_lshlrev_b32_e32 v72, 16, v73
	s_delay_alu instid0(VALU_DEP_2) | instskip(NEXT) | instid1(VALU_DEP_1)
	v_fmac_f32_e32 v75, v76, v5
	v_fmac_f32_e32 v75, v71, v6
	v_and_b32_e32 v71, 0xffff0000, v73
	s_delay_alu instid0(VALU_DEP_2) | instskip(NEXT) | instid1(VALU_DEP_1)
	v_dual_fmac_f32 v75, v72, v7 :: v_dual_and_b32 v72, 0xffff0000, v74
	v_fmac_f32_e32 v75, v71, v8
	v_lshlrev_b32_e32 v71, 16, v74
	s_delay_alu instid0(VALU_DEP_1) | instskip(NEXT) | instid1(VALU_DEP_1)
	v_fmac_f32_e32 v75, v71, v17
	v_fmac_f32_e32 v75, v72, v18
	ds_bpermute_b32 v71, v19, v75
	s_waitcnt lgkmcnt(0)
	v_add_f32_e32 v71, v75, v71
	ds_bpermute_b32 v72, v20, v71
	s_waitcnt lgkmcnt(0)
	v_add_f32_e32 v71, v71, v72
	ds_bpermute_b32 v72, v21, v71
	s_waitcnt lgkmcnt(0)
	v_add_f32_e32 v71, v71, v72
	s_cbranch_vccnz .LBB0_22
; %bb.21:                               ;   in Loop: Header=BB0_6 Depth=1
	global_load_u16 v72, v[0:1], off
	s_waitcnt vmcnt(0)
	v_fma_mix_f32 v71, v16, v72, v71 op_sel_hi:[0,1,0]
.LBB0_22:                               ;   in Loop: Header=BB0_6 Depth=1
	v_add_co_u32 v72, vcc_lo, v34, v29
	v_add_co_ci_u32_e32 v73, vcc_lo, 0, v35, vcc_lo
	v_add_co_u32 v76, vcc_lo, v36, v29
	v_add_co_ci_u32_e32 v77, vcc_lo, 0, v37, vcc_lo
	global_load_b128 v[72:75], v[72:73], off
	v_add_co_u32 v80, vcc_lo, v38, v29
	v_add_co_ci_u32_e32 v81, vcc_lo, 0, v39, vcc_lo
	global_load_b128 v[76:79], v[76:77], off
	;; [unrolled: 3-line block ×3, first 2 shown]
	global_load_b128 v[84:87], v[84:85], off
	v_add_co_u32 v88, vcc_lo, v44, v29
	v_add_co_ci_u32_e32 v89, vcc_lo, 0, v45, vcc_lo
	v_add_co_u32 v92, vcc_lo, v48, v29
	v_add_co_ci_u32_e32 v93, vcc_lo, 0, v49, vcc_lo
	global_load_b128 v[88:91], v[88:89], off
	v_add_co_u32 v96, vcc_lo, v50, v29
	v_add_co_ci_u32_e32 v97, vcc_lo, 0, v51, vcc_lo
	global_load_b128 v[92:95], v[92:93], off
	;; [unrolled: 3-line block ×3, first 2 shown]
	global_load_b128 v[100:103], v[100:101], off
	v_dual_add_f32 v104, 0x40051340, v64 :: v_dual_add_f32 v105, 0x40051340, v65
	v_dual_add_f32 v106, 0x40051340, v66 :: v_dual_add_f32 v107, 0x40051340, v67
	v_add_f32_e32 v108, 0x40051340, v69
	v_cndmask_b32_e64 v63, v63, v64, s3
	s_delay_alu instid0(VALU_DEP_4) | instskip(SKIP_2) | instid1(VALU_DEP_4)
	v_max3_f32 v104, v62, v104, v105
	v_add_f32_e32 v105, 0x40051340, v68
	v_add_co_u32 v30, vcc_lo, v30, s15
	v_cndmask_b32_e64 v63, v63, v65, s4
	s_delay_alu instid0(VALU_DEP_4) | instskip(SKIP_2) | instid1(VALU_DEP_3)
	v_max3_f32 v104, v104, v106, v107
	v_dual_add_f32 v106, 0x40051340, v70 :: v_dual_add_f32 v107, 0x40051340, v71
	v_add_co_ci_u32_e32 v31, vcc_lo, 0, v31, vcc_lo
	v_max3_f32 v104, v104, v105, v108
	v_cndmask_b32_e64 v63, v63, v66, s5
	v_add_co_u32 v0, vcc_lo, v0, s18
	v_add_co_ci_u32_e32 v1, vcc_lo, s19, v1, vcc_lo
	s_delay_alu instid0(VALU_DEP_4) | instskip(NEXT) | instid1(VALU_DEP_4)
	v_max3_f32 v104, v104, v106, v107
	v_cndmask_b32_e64 v63, v63, v67, s6
	v_add_co_u32 v32, vcc_lo, v32, s15
	v_add_co_ci_u32_e32 v33, vcc_lo, 0, v33, vcc_lo
	ds_bpermute_b32 v105, v26, v104
	v_cndmask_b32_e64 v63, v63, v68, s7
	v_add_co_u32 v34, vcc_lo, v34, s10
	v_add_co_ci_u32_e32 v35, vcc_lo, 0, v35, vcc_lo
	s_delay_alu instid0(VALU_DEP_3) | instskip(SKIP_1) | instid1(SALU_CYCLE_1)
	v_cndmask_b32_e64 v63, v63, v69, s8
	s_add_i32 s16, s16, s26
	s_cmp_ge_i32 s16, s42
	s_delay_alu instid0(VALU_DEP_1) | instskip(NEXT) | instid1(VALU_DEP_1)
	v_cndmask_b32_e64 v63, v63, v70, s9
	v_cndmask_b32_e64 v63, v63, v71, s2
	s_waitcnt lgkmcnt(0)
	v_max_f32_e32 v64, v105, v105
	s_delay_alu instid0(VALU_DEP_1) | instskip(SKIP_3) | instid1(VALU_DEP_1)
	v_max_f32_e32 v64, v104, v64
	ds_bpermute_b32 v65, v27, v64
	s_waitcnt lgkmcnt(0)
	v_max_f32_e32 v65, v65, v65
	v_max_f32_e32 v64, v64, v65
	s_delay_alu instid0(VALU_DEP_1) | instskip(NEXT) | instid1(VALU_DEP_1)
	v_sub_f32_e32 v63, v63, v64
	v_mul_f32_e32 v65, 0x3fb8aa3b, v63
	s_delay_alu instid0(VALU_DEP_1) | instskip(SKIP_1) | instid1(VALU_DEP_2)
	v_rndne_f32_e32 v67, v65
	v_fma_f32 v66, 0x3fb8aa3b, v63, -v65
	v_dual_sub_f32 v65, v65, v67 :: v_dual_sub_f32 v62, v62, v64
	v_cvt_i32_f32_e32 v67, v67
	s_delay_alu instid0(VALU_DEP_2) | instskip(SKIP_2) | instid1(VALU_DEP_3)
	v_mul_f32_e32 v68, 0x3fb8aa3b, v62
	v_cmp_ngt_f32_e32 vcc_lo, 0xc2ce8ed0, v63
	v_fmac_f32_e32 v66, 0x32a5705f, v63
	v_rndne_f32_e32 v69, v68
	s_delay_alu instid0(VALU_DEP_2) | instskip(SKIP_1) | instid1(VALU_DEP_3)
	v_add_f32_e32 v65, v65, v66
	v_fma_f32 v66, 0x3fb8aa3b, v62, -v68
	v_sub_f32_e32 v68, v68, v69
	s_delay_alu instid0(VALU_DEP_3) | instskip(SKIP_3) | instid1(VALU_DEP_2)
	v_exp_f32_e32 v65, v65
	s_waitcnt_depctr 0xfff
	v_ldexp_f32 v65, v65, v67
	v_cvt_i32_f32_e32 v67, v69
	v_cndmask_b32_e32 v65, 0, v65, vcc_lo
	v_add_co_u32 v36, vcc_lo, v36, s10
	v_add_co_ci_u32_e32 v37, vcc_lo, 0, v37, vcc_lo
	v_cmp_nlt_f32_e32 vcc_lo, 0x42b17218, v63
	s_delay_alu instid0(VALU_DEP_4)
	v_cndmask_b32_e32 v63, 0x7f800000, v65, vcc_lo
	v_add_co_u32 v38, vcc_lo, v38, s10
	v_add_co_ci_u32_e32 v39, vcc_lo, 0, v39, vcc_lo
	v_add_co_u32 v40, vcc_lo, v40, s15
	v_add_co_ci_u32_e32 v41, vcc_lo, 0, v41, vcc_lo
	v_cmp_ngt_f32_e32 vcc_lo, 0xc2ce8ed0, v62
	v_fmac_f32_e32 v66, 0x32a5705f, v62
	s_delay_alu instid0(VALU_DEP_1) | instskip(NEXT) | instid1(VALU_DEP_1)
	v_add_f32_e32 v66, v68, v66
	v_exp_f32_e32 v66, v66
	s_waitcnt_depctr 0xfff
	v_ldexp_f32 v65, v66, v67
	v_cvt_f16_f32_e32 v66, v63
	s_delay_alu instid0(VALU_DEP_2)
	v_cndmask_b32_e32 v65, 0, v65, vcc_lo
	ds_store_b16 v10, v66
	ds_load_u16 v66, v28
	v_add_co_u32 v42, vcc_lo, v42, s10
	v_add_co_ci_u32_e32 v43, vcc_lo, 0, v43, vcc_lo
	v_cmp_nlt_f32_e32 vcc_lo, 0x42b17218, v62
	ds_load_u16 v67, v28 offset:8
	ds_load_u16 v68, v28 offset:16
	;; [unrolled: 1-line block ×7, first 2 shown]
	v_cndmask_b32_e32 v62, 0x7f800000, v65, vcc_lo
	v_add_co_u32 v44, vcc_lo, v44, s10
	v_add_co_ci_u32_e32 v45, vcc_lo, 0, v45, vcc_lo
	s_delay_alu instid0(VALU_DEP_3)
	v_cvt_f16_f32_e32 v65, v62
	v_add_co_u32 v46, vcc_lo, v46, s15
	v_add_co_ci_u32_e32 v47, vcc_lo, 0, v47, vcc_lo
	v_add_co_u32 v48, vcc_lo, v48, s10
	v_add_co_ci_u32_e32 v49, vcc_lo, 0, v49, vcc_lo
	;; [unrolled: 2-line block ×7, first 2 shown]
	v_add_co_u32 v60, vcc_lo, v60, s15
	v_fma_f32 v22, v22, v62, v63
	v_add_co_ci_u32_e32 v61, vcc_lo, 0, v61, vcc_lo
	s_waitcnt vmcnt(7) lgkmcnt(7)
	v_pk_mul_f16 v72, v66, v72 op_sel_hi:[0,1]
	v_pk_mul_f16 v73, v66, v73 op_sel_hi:[0,1]
	v_pk_mul_f16 v74, v66, v74 op_sel_hi:[0,1]
	v_pk_mul_f16 v66, v66, v75 op_sel_hi:[0,1]
	s_delay_alu instid0(VALU_DEP_4) | instskip(NEXT) | instid1(VALU_DEP_4)
	v_pk_fma_f16 v23, v65, v23, v72 op_sel_hi:[0,1,1]
	v_pk_fma_f16 v25, v65, v25, v73 op_sel_hi:[0,1,1]
	s_delay_alu instid0(VALU_DEP_4) | instskip(NEXT) | instid1(VALU_DEP_4)
	v_pk_fma_f16 v24, v65, v24, v74 op_sel_hi:[0,1,1]
	v_pk_fma_f16 v2, v65, v2, v66 op_sel_hi:[0,1,1]
	s_waitcnt vmcnt(6) lgkmcnt(6)
	v_pk_fma_f16 v23, v67, v76, v23 op_sel_hi:[0,1,1]
	v_pk_fma_f16 v25, v67, v77, v25 op_sel_hi:[0,1,1]
	v_pk_fma_f16 v24, v67, v78, v24 op_sel_hi:[0,1,1]
	v_pk_fma_f16 v2, v67, v79, v2 op_sel_hi:[0,1,1]
	s_waitcnt vmcnt(5) lgkmcnt(5)
	v_pk_fma_f16 v23, v68, v80, v23 op_sel_hi:[0,1,1]
	v_pk_fma_f16 v25, v68, v81, v25 op_sel_hi:[0,1,1]
	;; [unrolled: 5-line block ×7, first 2 shown]
	v_pk_fma_f16 v24, v105, v102, v24 op_sel_hi:[0,1,1]
	v_pk_fma_f16 v2, v105, v103, v2 op_sel_hi:[0,1,1]
	s_cbranch_scc1 .LBB0_25
; %bb.23:                               ;   in Loop: Header=BB0_6 Depth=1
	v_mov_b32_e32 v62, v64
	s_branch .LBB0_6
.LBB0_24:
	v_dual_mov_b32 v64, 0xfeffffff :: v_dual_mov_b32 v25, 0
	v_mov_b32_e32 v22, 0
	v_mov_b32_e32 v24, 0
	s_waitcnt vmcnt(1)
	v_mov_b32_e32 v2, 0
.LBB0_25:
	v_or_b32_e32 v0, s14, v13
	s_cmp_lg_u64 s[24:25], 0
	s_cselect_b32 s2, -1, 0
	s_delay_alu instid0(VALU_DEP_1) | instskip(SKIP_1) | instid1(SALU_CYCLE_1)
	v_cmp_eq_u32_e32 vcc_lo, 0, v0
	s_and_b32 s3, vcc_lo, s2
	s_and_saveexec_b32 s2, s3
	s_cbranch_execz .LBB0_27
; %bb.26:
	s_ashr_i32 s41, s40, 31
	v_max_f32_e32 v0, v64, v64
	s_lshl_b64 s[4:5], s[40:41], 2
	s_delay_alu instid0(SALU_CYCLE_1) | instskip(SKIP_4) | instid1(VALU_DEP_1)
	s_add_u32 s4, s24, s4
	s_addc_u32 s5, s25, s5
	s_load_b32 s3, s[4:5], 0x0
	s_waitcnt lgkmcnt(0)
	v_max_f32_e64 v1, s3, s3
	v_max_f32_e32 v0, v1, v0
	s_delay_alu instid0(VALU_DEP_1) | instskip(NEXT) | instid1(VALU_DEP_1)
	v_sub_f32_e32 v1, s3, v0
	v_dual_sub_f32 v3, v64, v0 :: v_dual_mul_f32 v4, 0x3fb8aa3b, v1
	s_waitcnt vmcnt(0)
	s_delay_alu instid0(VALU_DEP_1) | instskip(NEXT) | instid1(VALU_DEP_2)
	v_mul_f32_e32 v5, 0x3fb8aa3b, v3
	v_fma_f32 v6, 0x3fb8aa3b, v1, -v4
	v_rndne_f32_e32 v7, v4
	s_delay_alu instid0(VALU_DEP_3) | instskip(SKIP_1) | instid1(VALU_DEP_3)
	v_fma_f32 v8, 0x3fb8aa3b, v3, -v5
	v_rndne_f32_e32 v16, v5
	v_sub_f32_e32 v4, v4, v7
	s_delay_alu instid0(VALU_DEP_2) | instskip(NEXT) | instid1(VALU_DEP_4)
	v_dual_fmac_f32 v6, 0x32a5705f, v1 :: v_dual_sub_f32 v5, v5, v16
	v_fmac_f32_e32 v8, 0x32a5705f, v3
	v_cmp_ngt_f32_e32 vcc_lo, 0xc2ce8ed0, v1
	s_delay_alu instid0(VALU_DEP_3) | instskip(SKIP_1) | instid1(VALU_DEP_4)
	v_add_f32_e32 v4, v4, v6
	v_cvt_i32_f32_e32 v6, v7
	v_add_f32_e32 v5, v5, v8
	v_cvt_i32_f32_e32 v7, v16
	s_delay_alu instid0(VALU_DEP_4) | instskip(NEXT) | instid1(VALU_DEP_2)
	v_exp_f32_e32 v4, v4
	v_exp_f32_e32 v5, v5
	s_waitcnt_depctr 0xfff
	v_ldexp_f32 v4, v4, v6
	v_ldexp_f32 v5, v5, v7
	s_delay_alu instid0(VALU_DEP_2) | instskip(SKIP_1) | instid1(VALU_DEP_3)
	v_cndmask_b32_e32 v4, 0, v4, vcc_lo
	v_cmp_ngt_f32_e32 vcc_lo, 0xc2ce8ed0, v3
	v_cndmask_b32_e32 v5, 0, v5, vcc_lo
	v_cmp_nlt_f32_e32 vcc_lo, 0x42b17218, v1
	s_delay_alu instid0(VALU_DEP_4) | instskip(SKIP_1) | instid1(VALU_DEP_4)
	v_dual_mov_b32 v64, v0 :: v_dual_cndmask_b32 v1, 0x7f800000, v4
	v_cmp_nlt_f32_e32 vcc_lo, 0x42b17218, v3
	v_cndmask_b32_e32 v3, 0x7f800000, v5, vcc_lo
	v_cmp_eq_u32_e32 vcc_lo, 0, v15
	s_delay_alu instid0(VALU_DEP_4) | instskip(NEXT) | instid1(VALU_DEP_1)
	v_cndmask_b32_e32 v1, 0, v1, vcc_lo
	v_fmac_f32_e32 v1, v22, v3
	s_delay_alu instid0(VALU_DEP_1) | instskip(SKIP_1) | instid1(VALU_DEP_1)
	v_mov_b32_e32 v22, v1
	v_cvt_f16_f32_e32 v4, v3
	v_pk_mul_f16 v23, v4, v23 op_sel_hi:[0,1]
	v_pk_mul_f16 v25, v4, v25 op_sel_hi:[0,1]
	;; [unrolled: 1-line block ×4, first 2 shown]
.LBB0_27:
	s_or_b32 exec_lo, exec_lo, s2
	s_delay_alu instid0(SALU_CYCLE_1)
	s_mov_b32 s2, exec_lo
	v_cmpx_eq_u32_e32 0, v13
	s_cbranch_execz .LBB0_29
; %bb.28:
	v_dual_mov_b32 v0, 0xfeffffff :: v_dual_mov_b32 v1, 0
	v_add_nc_u32_e32 v3, 0x800, v11
	ds_store_2addr_b32 v3, v0, v1 offset1:32
.LBB0_29:
	s_or_b32 exec_lo, exec_lo, s2
	v_cmp_eq_u32_e32 vcc_lo, 0, v15
	s_waitcnt vmcnt(0)
	v_lshlrev_b32_e32 v8, 2, v13
	s_waitcnt lgkmcnt(0)
	s_barrier
	buffer_gl0_inv
	s_and_saveexec_b32 s2, vcc_lo
	s_cbranch_execz .LBB0_31
; %bb.30:
	ds_store_b32 v8, v64 offset:2048
.LBB0_31:
	s_or_b32 exec_lo, exec_lo, s2
	s_waitcnt lgkmcnt(0)
	s_barrier
	buffer_gl0_inv
	ds_load_b32 v0, v11 offset:2048
	v_xor_b32_e32 v1, 16, v14
	v_xor_b32_e32 v3, 8, v14
	s_delay_alu instid0(VALU_DEP_2) | instskip(NEXT) | instid1(VALU_DEP_1)
	v_cmp_gt_i32_e64 s2, 32, v1
	v_cndmask_b32_e64 v1, v14, v1, s2
	s_delay_alu instid0(VALU_DEP_3) | instskip(NEXT) | instid1(VALU_DEP_2)
	v_cmp_gt_i32_e64 s2, 32, v3
	v_lshlrev_b32_e32 v5, 2, v1
	s_delay_alu instid0(VALU_DEP_2)
	v_cndmask_b32_e64 v3, v14, v3, s2
	s_waitcnt lgkmcnt(0)
	ds_bpermute_b32 v1, v5, v0
	v_max_f32_e32 v0, v0, v0
	v_lshlrev_b32_e32 v6, 2, v3
	v_xor_b32_e32 v3, 4, v14
	s_delay_alu instid0(VALU_DEP_1) | instskip(NEXT) | instid1(VALU_DEP_1)
	v_cmp_gt_i32_e64 s2, 32, v3
	v_cndmask_b32_e64 v3, v14, v3, s2
	s_delay_alu instid0(VALU_DEP_1) | instskip(SKIP_3) | instid1(VALU_DEP_2)
	v_lshlrev_b32_e32 v7, 2, v3
	v_xor_b32_e32 v3, 2, v14
	s_waitcnt lgkmcnt(0)
	v_max_f32_e32 v1, v1, v1
	v_cmp_gt_i32_e64 s2, 32, v3
	s_delay_alu instid0(VALU_DEP_2) | instskip(NEXT) | instid1(VALU_DEP_2)
	v_max_f32_e32 v0, v0, v1
	v_cndmask_b32_e64 v3, v14, v3, s2
	ds_bpermute_b32 v1, v6, v0
	v_lshlrev_b32_e32 v4, 2, v3
	v_xor_b32_e32 v3, 1, v14
	s_delay_alu instid0(VALU_DEP_1) | instskip(NEXT) | instid1(VALU_DEP_1)
	v_cmp_gt_i32_e64 s2, 32, v3
	v_cndmask_b32_e64 v3, v14, v3, s2
	s_waitcnt lgkmcnt(0)
	v_max_f32_e32 v1, v1, v1
	s_delay_alu instid0(VALU_DEP_1) | instskip(SKIP_3) | instid1(VALU_DEP_1)
	v_dual_max_f32 v0, v0, v1 :: v_dual_lshlrev_b32 v3, 2, v3
	ds_bpermute_b32 v1, v7, v0
	s_waitcnt lgkmcnt(0)
	v_max_f32_e32 v1, v1, v1
	v_max_f32_e32 v0, v0, v1
	ds_bpermute_b32 v1, v4, v0
	s_waitcnt lgkmcnt(0)
	v_max_f32_e32 v1, v1, v1
	s_delay_alu instid0(VALU_DEP_1) | instskip(SKIP_3) | instid1(VALU_DEP_1)
	v_max_f32_e32 v0, v0, v1
	ds_bpermute_b32 v1, v3, v0
	s_waitcnt lgkmcnt(0)
	v_max_f32_e32 v1, v1, v1
	v_max_f32_e32 v0, v0, v1
	s_delay_alu instid0(VALU_DEP_1) | instskip(NEXT) | instid1(VALU_DEP_1)
	v_sub_f32_e32 v1, v64, v0
	v_mul_f32_e32 v14, 0x3fb8aa3b, v1
	v_cmp_ngt_f32_e64 s2, 0xc2ce8ed0, v1
	s_delay_alu instid0(VALU_DEP_2) | instskip(SKIP_1) | instid1(VALU_DEP_1)
	v_fma_f32 v15, 0x3fb8aa3b, v1, -v14
	v_rndne_f32_e32 v16, v14
	v_dual_fmamk_f32 v15, v1, 0x32a5705f, v15 :: v_dual_sub_f32 v14, v14, v16
	s_delay_alu instid0(VALU_DEP_1) | instskip(SKIP_1) | instid1(VALU_DEP_2)
	v_add_f32_e32 v14, v14, v15
	v_cvt_i32_f32_e32 v15, v16
	v_exp_f32_e32 v14, v14
	s_waitcnt_depctr 0xfff
	v_ldexp_f32 v14, v14, v15
	s_delay_alu instid0(VALU_DEP_1) | instskip(SKIP_1) | instid1(VALU_DEP_1)
	v_cndmask_b32_e64 v14, 0, v14, s2
	v_cmp_nlt_f32_e64 s2, 0x42b17218, v1
	v_cndmask_b32_e64 v1, 0x7f800000, v14, s2
	s_delay_alu instid0(VALU_DEP_1)
	v_mul_f32_e32 v14, v22, v1
	ds_bpermute_b32 v14, v5, v14
	s_waitcnt lgkmcnt(0)
	v_fmac_f32_e32 v14, v22, v1
	v_cvt_f16_f32_e32 v1, v1
	ds_bpermute_b32 v15, v6, v14
	v_pk_mul_f16 v16, v1, v2 op_sel_hi:[0,1]
	s_waitcnt lgkmcnt(0)
	v_add_f32_e32 v14, v14, v15
	ds_bpermute_b32 v15, v7, v14
	s_waitcnt lgkmcnt(0)
	v_add_f32_e32 v14, v14, v15
	ds_bpermute_b32 v15, v4, v14
	s_waitcnt lgkmcnt(0)
	v_add_f32_e32 v17, v14, v15
	v_and_b32_e32 v14, 0x1e0, v11
	v_pk_mul_f16 v15, v1, v24 op_sel_hi:[0,1]
	ds_bpermute_b32 v18, v3, v17
	v_lshlrev_b32_e32 v14, 2, v14
	s_delay_alu instid0(VALU_DEP_1) | instskip(SKIP_2) | instid1(VALU_DEP_3)
	v_lshl_add_u32 v19, v13, 9, v14
	v_pk_mul_f16 v13, v1, v23 op_sel_hi:[0,1]
	v_pk_mul_f16 v14, v1, v25 op_sel_hi:[0,1]
	v_lshl_or_b32 v2, v12, 2, v19
	ds_store_b128 v2, v[13:16]
	s_waitcnt lgkmcnt(1)
	v_add_f32_e32 v1, v17, v18
	s_and_saveexec_b32 s2, vcc_lo
	s_cbranch_execz .LBB0_33
; %bb.32:
	ds_store_b32 v8, v1 offset:2176
.LBB0_33:
	s_or_b32 exec_lo, exec_lo, s2
	s_delay_alu instid0(SALU_CYCLE_1)
	s_mov_b32 s2, exec_lo
	s_waitcnt lgkmcnt(0)
	s_barrier
	buffer_gl0_inv
                                        ; implicit-def: $sgpr3
	v_cmpx_lt_u32_e32 63, v9
	s_xor_b32 s2, exec_lo, s2
	s_cbranch_execz .LBB0_35
; %bb.34:
	s_load_b32 s3, s[0:1], 0xd4
                                        ; implicit-def: $vgpr11
                                        ; implicit-def: $vgpr5
                                        ; implicit-def: $vgpr6
                                        ; implicit-def: $vgpr7
                                        ; implicit-def: $vgpr4
                                        ; implicit-def: $vgpr3
                                        ; implicit-def: $vgpr10
.LBB0_35:
	s_or_saveexec_b32 s2, s2
	s_waitcnt lgkmcnt(0)
	v_mov_b32_e32 v2, s3
	s_mul_i32 s3, s12, s34
	s_xor_b32 exec_lo, exec_lo, s2
	s_cbranch_execz .LBB0_37
; %bb.36:
	ds_load_b32 v1, v11 offset:2176
	ds_load_u16 v2, v10
	ds_load_u16 v8, v10 offset:128
	ds_load_u16 v11, v10 offset:256
	;; [unrolled: 1-line block ×6, first 2 shown]
	s_waitcnt lgkmcnt(7)
	ds_bpermute_b32 v5, v5, v1
	s_waitcnt lgkmcnt(7)
	v_cvt_f32_f16_e32 v2, v2
	s_waitcnt lgkmcnt(0)
	s_delay_alu instid0(VALU_DEP_1) | instskip(SKIP_4) | instid1(VALU_DEP_2)
	v_dual_add_f32 v2, 0, v2 :: v_dual_add_f32 v1, v1, v5
	ds_bpermute_b32 v5, v6, v1
	v_cvt_f32_f16_e32 v6, v8
	v_cvt_f32_f16_e32 v8, v13
	s_waitcnt lgkmcnt(0)
	v_dual_add_f32 v2, v2, v6 :: v_dual_add_f32 v1, v1, v5
	v_cvt_f32_f16_e32 v5, v11
	v_cvt_f32_f16_e32 v11, v14
	ds_bpermute_b32 v6, v7, v1
	v_add_f32_e32 v2, v2, v5
	v_cvt_f32_f16_e32 v7, v12
	ds_load_u16 v5, v10 offset:896
	v_cvt_f32_f16_e32 v12, v15
	s_waitcnt lgkmcnt(1)
	v_add_f32_e32 v1, v1, v6
	ds_bpermute_b32 v4, v4, v1
	v_add_f32_e32 v2, v2, v7
	ds_load_u16 v7, v10 offset:1024
	s_waitcnt lgkmcnt(1)
	v_add_f32_e32 v1, v1, v4
	ds_bpermute_b32 v3, v3, v1
	v_add_f32_e32 v2, v2, v8
	ds_load_u16 v8, v10 offset:1152
	v_cvt_f32_f16_e32 v5, v5
	s_waitcnt lgkmcnt(2)
	v_cvt_f32_f16_e32 v7, v7
	s_waitcnt lgkmcnt(1)
	v_add_f32_e32 v1, v1, v3
	v_add_f32_e32 v2, v2, v11
	ds_load_u16 v6, v10 offset:1280
	ds_load_u16 v11, v10 offset:1408
	;; [unrolled: 1-line block ×5, first 2 shown]
	s_load_b32 s0, s[0:1], 0xd4
	v_add_f32_e32 v2, v2, v12
	s_delay_alu instid0(VALU_DEP_1) | instskip(SKIP_2) | instid1(VALU_DEP_2)
	v_add_f32_e32 v2, v2, v5
	s_waitcnt lgkmcnt(0)
	v_cvt_f32_f16_e32 v5, v8
	v_add_f32_e32 v2, v2, v7
	v_cvt_f32_f16_e32 v6, v6
	v_cvt_f32_f16_e32 v7, v11
	v_cvt_f32_f16_e32 v4, v13
	s_delay_alu instid0(VALU_DEP_4) | instskip(SKIP_4) | instid1(VALU_DEP_2)
	v_add_f32_e32 v2, v2, v5
	ds_load_u16 v5, v10 offset:1920
	s_cmp_eq_u32 s0, 1
	v_add_f32_e32 v2, v2, v6
	v_cvt_f32_f16_e32 v6, v14
	v_add_f32_e32 v2, v2, v7
	s_delay_alu instid0(VALU_DEP_1) | instskip(SKIP_1) | instid1(VALU_DEP_2)
	v_add_f32_e32 v2, v2, v4
	v_cvt_f32_f16_e32 v4, v15
	v_add_f32_e32 v2, v2, v6
	s_waitcnt lgkmcnt(0)
	v_cvt_f32_f16_e32 v5, v5
	s_delay_alu instid0(VALU_DEP_2) | instskip(NEXT) | instid1(VALU_DEP_1)
	v_add_f32_e32 v2, v2, v4
	v_add_f32_e32 v4, v2, v5
	s_delay_alu instid0(VALU_DEP_1) | instskip(SKIP_1) | instid1(VALU_DEP_2)
	v_div_scale_f32 v2, null, v1, v1, v4
	v_div_scale_f32 v6, vcc_lo, v4, v1, v4
	v_rcp_f32_e32 v3, v2
	s_waitcnt_depctr 0xfff
	v_fma_f32 v5, -v2, v3, 1.0
	s_delay_alu instid0(VALU_DEP_1) | instskip(NEXT) | instid1(VALU_DEP_1)
	v_fmac_f32_e32 v3, v5, v3
	v_mul_f32_e32 v5, v6, v3
	s_delay_alu instid0(VALU_DEP_1) | instskip(NEXT) | instid1(VALU_DEP_1)
	v_fma_f32 v7, -v2, v5, v6
	v_fmac_f32_e32 v5, v7, v3
	s_delay_alu instid0(VALU_DEP_1) | instskip(NEXT) | instid1(VALU_DEP_1)
	v_fma_f32 v2, -v2, v5, v6
	v_div_fmas_f32 v2, v2, v3, v5
	s_cselect_b32 vcc_lo, -1, 0
	s_add_i32 s1, s3, s13
	v_mov_b32_e32 v3, 0
	s_mul_i32 s1, s1, s35
	v_div_fixup_f32 v5, v2, v1, v4
	s_add_i32 s1, s1, s40
	s_delay_alu instid0(SALU_CYCLE_1) | instskip(NEXT) | instid1(SALU_CYCLE_1)
	s_mul_i32 s1, s0, s1
	s_add_i32 s1, s1, s14
	s_delay_alu instid0(VALU_DEP_1) | instskip(SKIP_1) | instid1(VALU_DEP_1)
	v_cndmask_b32_e32 v6, v4, v5, vcc_lo
	v_lshl_or_b32 v2, s1, 6, v9
	v_lshlrev_b64 v[2:3], 2, v[2:3]
	s_delay_alu instid0(VALU_DEP_1) | instskip(SKIP_1) | instid1(VALU_DEP_3)
	v_add_co_u32 v4, vcc_lo, s28, v2
	v_mov_b32_e32 v2, s0
	v_add_co_ci_u32_e32 v5, vcc_lo, s29, v3, vcc_lo
	global_store_b32 v[4:5], v6, off
.LBB0_37:
	s_or_b32 exec_lo, exec_lo, s2
	v_cmp_ne_u32_e32 vcc_lo, 1, v2
	v_cmp_eq_u32_e64 s0, 0, v9
	s_delay_alu instid0(VALU_DEP_1) | instskip(NEXT) | instid1(SALU_CYCLE_1)
	s_and_b32 s0, s0, vcc_lo
	s_and_saveexec_b32 s1, s0
	s_cbranch_execz .LBB0_39
; %bb.38:
	s_add_i32 s0, s3, s13
	s_delay_alu instid0(SALU_CYCLE_1) | instskip(NEXT) | instid1(SALU_CYCLE_1)
	s_mul_i32 s0, s0, s35
	s_add_i32 s0, s0, s40
	s_delay_alu instid0(SALU_CYCLE_1) | instskip(SKIP_1) | instid1(VALU_DEP_1)
	v_mad_u64_u32 v[3:4], null, v2, s0, s[14:15]
	v_mov_b32_e32 v4, 0
	v_lshlrev_b64 v[2:3], 3, v[3:4]
	s_delay_alu instid0(VALU_DEP_1) | instskip(NEXT) | instid1(VALU_DEP_2)
	v_add_co_u32 v2, vcc_lo, s30, v2
	v_add_co_ci_u32_e32 v3, vcc_lo, s31, v3, vcc_lo
	global_store_b64 v[2:3], v[0:1], off
.LBB0_39:
	s_nop 0
	s_sendmsg sendmsg(MSG_DEALLOC_VGPRS)
	s_endpgm
	.section	.rodata,"a",@progbits
	.p2align	6, 0x0
	.amdhsa_kernel _ZL18flash_attn_ext_vecILi64ELi1EL9ggml_type30ELS0_1ELb0EEvPKcS2_S2_S2_S2_PKiPfP15HIP_vector_typeIfLj2EEffffjfiS6_IjLj3EEiiiiiiiiiiiliiliiiiil
		.amdhsa_group_segment_fixed_size 2304
		.amdhsa_private_segment_fixed_size 0
		.amdhsa_kernarg_size 464
		.amdhsa_user_sgpr_count 13
		.amdhsa_user_sgpr_dispatch_ptr 0
		.amdhsa_user_sgpr_queue_ptr 0
		.amdhsa_user_sgpr_kernarg_segment_ptr 1
		.amdhsa_user_sgpr_dispatch_id 0
		.amdhsa_user_sgpr_private_segment_size 0
		.amdhsa_wavefront_size32 1
		.amdhsa_uses_dynamic_stack 0
		.amdhsa_enable_private_segment 0
		.amdhsa_system_sgpr_workgroup_id_x 1
		.amdhsa_system_sgpr_workgroup_id_y 1
		.amdhsa_system_sgpr_workgroup_id_z 1
		.amdhsa_system_sgpr_workgroup_info 0
		.amdhsa_system_vgpr_workitem_id 1
		.amdhsa_next_free_vgpr 109
		.amdhsa_next_free_sgpr 54
		.amdhsa_reserve_vcc 1
		.amdhsa_float_round_mode_32 0
		.amdhsa_float_round_mode_16_64 0
		.amdhsa_float_denorm_mode_32 3
		.amdhsa_float_denorm_mode_16_64 3
		.amdhsa_dx10_clamp 1
		.amdhsa_ieee_mode 1
		.amdhsa_fp16_overflow 0
		.amdhsa_workgroup_processor_mode 1
		.amdhsa_memory_ordered 1
		.amdhsa_forward_progress 0
		.amdhsa_shared_vgpr_count 0
		.amdhsa_exception_fp_ieee_invalid_op 0
		.amdhsa_exception_fp_denorm_src 0
		.amdhsa_exception_fp_ieee_div_zero 0
		.amdhsa_exception_fp_ieee_overflow 0
		.amdhsa_exception_fp_ieee_underflow 0
		.amdhsa_exception_fp_ieee_inexact 0
		.amdhsa_exception_int_div_zero 0
	.end_amdhsa_kernel
	.section	.text._ZL18flash_attn_ext_vecILi64ELi1EL9ggml_type30ELS0_1ELb0EEvPKcS2_S2_S2_S2_PKiPfP15HIP_vector_typeIfLj2EEffffjfiS6_IjLj3EEiiiiiiiiiiiliiliiiiil,"axG",@progbits,_ZL18flash_attn_ext_vecILi64ELi1EL9ggml_type30ELS0_1ELb0EEvPKcS2_S2_S2_S2_PKiPfP15HIP_vector_typeIfLj2EEffffjfiS6_IjLj3EEiiiiiiiiiiiliiliiiiil,comdat
.Lfunc_end0:
	.size	_ZL18flash_attn_ext_vecILi64ELi1EL9ggml_type30ELS0_1ELb0EEvPKcS2_S2_S2_S2_PKiPfP15HIP_vector_typeIfLj2EEffffjfiS6_IjLj3EEiiiiiiiiiiiliiliiiiil, .Lfunc_end0-_ZL18flash_attn_ext_vecILi64ELi1EL9ggml_type30ELS0_1ELb0EEvPKcS2_S2_S2_S2_PKiPfP15HIP_vector_typeIfLj2EEffffjfiS6_IjLj3EEiiiiiiiiiiiliiliiiiil
                                        ; -- End function
	.section	.AMDGPU.csdata,"",@progbits
; Kernel info:
; codeLenInByte = 7700
; NumSgprs: 56
; NumVgprs: 109
; ScratchSize: 0
; MemoryBound: 0
; FloatMode: 240
; IeeeMode: 1
; LDSByteSize: 2304 bytes/workgroup (compile time only)
; SGPRBlocks: 6
; VGPRBlocks: 13
; NumSGPRsForWavesPerEU: 56
; NumVGPRsForWavesPerEU: 109
; Occupancy: 12
; WaveLimiterHint : 1
; COMPUTE_PGM_RSRC2:SCRATCH_EN: 0
; COMPUTE_PGM_RSRC2:USER_SGPR: 13
; COMPUTE_PGM_RSRC2:TRAP_HANDLER: 0
; COMPUTE_PGM_RSRC2:TGID_X_EN: 1
; COMPUTE_PGM_RSRC2:TGID_Y_EN: 1
; COMPUTE_PGM_RSRC2:TGID_Z_EN: 1
; COMPUTE_PGM_RSRC2:TIDIG_COMP_CNT: 1
	.section	.text._ZL25flash_attn_mask_to_KV_maxILi1EEvPK7__half2Piiii,"axG",@progbits,_ZL25flash_attn_mask_to_KV_maxILi1EEvPK7__half2Piiii,comdat
	.globl	_ZL25flash_attn_mask_to_KV_maxILi1EEvPK7__half2Piiii ; -- Begin function _ZL25flash_attn_mask_to_KV_maxILi1EEvPK7__half2Piiii
	.p2align	8
	.type	_ZL25flash_attn_mask_to_KV_maxILi1EEvPK7__half2Piiii,@function
_ZL25flash_attn_mask_to_KV_maxILi1EEvPK7__half2Piiii: ; @_ZL25flash_attn_mask_to_KV_maxILi1EEvPK7__half2Piiii
; %bb.0:
	s_load_b128 s[4:7], s[0:1], 0x0
	s_mov_b32 s2, exec_lo
	v_cmpx_gt_u32_e32 32, v0
	s_cbranch_execz .LBB1_2
; %bb.1:
	v_dual_mov_b32 v2, 1 :: v_dual_lshlrev_b32 v1, 2, v0
	ds_store_b32 v1, v2
.LBB1_2:
	s_or_b32 exec_lo, exec_lo, s2
	s_clause 0x1
	s_load_b128 s[8:11], s[0:1], 0x10
	s_load_b32 s1, s[0:1], 0x20
	v_dual_mov_b32 v2, 0 :: v_dual_and_b32 v1, 31, v0
	v_lshrrev_b32_e32 v3, 3, v0
	s_waitcnt lgkmcnt(0)
	s_barrier
	s_delay_alu instid0(VALU_DEP_2) | instskip(SKIP_3) | instid1(SALU_CYCLE_1)
	v_lshlrev_b32_e32 v4, 2, v1
	buffer_gl0_inv
	s_mul_i32 s0, s15, s10
	s_mul_i32 s2, s14, s9
	s_add_i32 s2, s0, s2
	v_cmp_eq_u32_e64 s0, 0, v1
	s_ashr_i32 s3, s2, 31
	s_delay_alu instid0(SALU_CYCLE_1) | instskip(NEXT) | instid1(SALU_CYCLE_1)
	s_lshl_b64 s[10:11], s[2:3], 2
	s_add_u32 s3, s4, s10
	s_addc_u32 s4, s5, s11
	s_lshl_b32 s5, s8, 8
	s_branch .LBB1_4
	.p2align	6
.LBB1_3:                                ;   in Loop: Header=BB1_4 Depth=1
	s_or_b32 exec_lo, exec_lo, s9
	s_waitcnt lgkmcnt(0)
	s_barrier
	buffer_gl0_inv
	ds_load_b32 v1, v4
	s_waitcnt lgkmcnt(0)
	s_barrier
	buffer_gl0_inv
	;;#ASMSTART
	;;#ASMEND
	v_cmp_ne_u32_e32 vcc_lo, 0, v1
	s_cmp_lg_u32 vcc_lo, exec_lo
	s_cselect_b32 s8, -1, 0
	s_delay_alu instid0(SALU_CYCLE_1)
	s_and_b32 vcc_lo, exec_lo, s8
	s_cbranch_vccnz .LBB1_8
.LBB1_4:                                ; =>This Inner Loop Header: Depth=1
	s_mov_b32 s2, s5
	s_addk_i32 s5, 0xff00
	s_delay_alu instid0(SALU_CYCLE_1)
	s_cmp_lt_i32 s5, 0
	s_cbranch_scc1 .LBB1_7
; %bb.5:                                ;   in Loop: Header=BB1_4 Depth=1
	s_lshr_b32 s9, s5, 1
	s_mov_b32 s8, exec_lo
	v_add_nc_u32_e32 v1, s9, v0
	s_delay_alu instid0(VALU_DEP_1) | instskip(NEXT) | instid1(VALU_DEP_1)
	v_lshlrev_b64 v[5:6], 2, v[1:2]
	v_add_co_u32 v5, vcc_lo, s3, v5
	s_delay_alu instid0(VALU_DEP_2) | instskip(SKIP_4) | instid1(VALU_DEP_2)
	v_add_co_ci_u32_e32 v6, vcc_lo, s4, v6, vcc_lo
	global_load_b32 v1, v[5:6], off
	s_waitcnt vmcnt(0)
	v_lshrrev_b32_e32 v5, 16, v1
	v_cmp_class_f16_e64 s9, v1, 0x204
	v_and_b32_e32 v5, 0x7fff, v5
	s_delay_alu instid0(VALU_DEP_1) | instskip(NEXT) | instid1(VALU_DEP_3)
	v_cmp_eq_f16_e32 vcc_lo, 0x7c00, v5
	s_and_b32 s9, s9, vcc_lo
	s_delay_alu instid0(SALU_CYCLE_1) | instskip(SKIP_1) | instid1(VALU_DEP_1)
	v_cndmask_b32_e64 v1, 0, 1, s9
	;;#ASMSTART
	;;#ASMEND
	v_cmp_ne_u32_e32 vcc_lo, 0, v1
	s_and_saveexec_b32 s9, s0
	s_cbranch_execz .LBB1_3
; %bb.6:                                ;   in Loop: Header=BB1_4 Depth=1
	s_cmp_eq_u32 vcc_lo, s8
	s_cselect_b32 s8, -1, 0
	s_delay_alu instid0(SALU_CYCLE_1)
	v_cndmask_b32_e64 v1, 0, 1, s8
	ds_store_b32 v3, v1
	s_branch .LBB1_3
.LBB1_7:                                ;   in Loop: Header=BB1_4 Depth=1
                                        ; implicit-def: $sgpr5
	s_cbranch_execz .LBB1_4
.LBB1_8:
	s_mov_b32 s0, exec_lo
	v_cmpx_eq_u32_e32 0, v0
	s_cbranch_execz .LBB1_10
; %bb.9:
	s_mul_i32 s0, s1, s15
	v_dual_mov_b32 v0, 0 :: v_dual_mov_b32 v1, s2
	s_add_i32 s0, s0, s14
	s_delay_alu instid0(SALU_CYCLE_1) | instskip(NEXT) | instid1(SALU_CYCLE_1)
	s_ashr_i32 s1, s0, 31
	s_lshl_b64 s[0:1], s[0:1], 2
	s_delay_alu instid0(SALU_CYCLE_1)
	s_add_u32 s0, s6, s0
	s_addc_u32 s1, s7, s1
	global_store_b32 v0, v1, s[0:1]
.LBB1_10:
	s_nop 0
	s_sendmsg sendmsg(MSG_DEALLOC_VGPRS)
	s_endpgm
	.section	.rodata,"a",@progbits
	.p2align	6, 0x0
	.amdhsa_kernel _ZL25flash_attn_mask_to_KV_maxILi1EEvPK7__half2Piiii
		.amdhsa_group_segment_fixed_size 128
		.amdhsa_private_segment_fixed_size 0
		.amdhsa_kernarg_size 288
		.amdhsa_user_sgpr_count 14
		.amdhsa_user_sgpr_dispatch_ptr 0
		.amdhsa_user_sgpr_queue_ptr 0
		.amdhsa_user_sgpr_kernarg_segment_ptr 1
		.amdhsa_user_sgpr_dispatch_id 0
		.amdhsa_user_sgpr_private_segment_size 0
		.amdhsa_wavefront_size32 1
		.amdhsa_uses_dynamic_stack 0
		.amdhsa_enable_private_segment 0
		.amdhsa_system_sgpr_workgroup_id_x 1
		.amdhsa_system_sgpr_workgroup_id_y 1
		.amdhsa_system_sgpr_workgroup_id_z 0
		.amdhsa_system_sgpr_workgroup_info 0
		.amdhsa_system_vgpr_workitem_id 0
		.amdhsa_next_free_vgpr 7
		.amdhsa_next_free_sgpr 16
		.amdhsa_reserve_vcc 1
		.amdhsa_float_round_mode_32 0
		.amdhsa_float_round_mode_16_64 0
		.amdhsa_float_denorm_mode_32 3
		.amdhsa_float_denorm_mode_16_64 3
		.amdhsa_dx10_clamp 1
		.amdhsa_ieee_mode 1
		.amdhsa_fp16_overflow 0
		.amdhsa_workgroup_processor_mode 1
		.amdhsa_memory_ordered 1
		.amdhsa_forward_progress 0
		.amdhsa_shared_vgpr_count 0
		.amdhsa_exception_fp_ieee_invalid_op 0
		.amdhsa_exception_fp_denorm_src 0
		.amdhsa_exception_fp_ieee_div_zero 0
		.amdhsa_exception_fp_ieee_overflow 0
		.amdhsa_exception_fp_ieee_underflow 0
		.amdhsa_exception_fp_ieee_inexact 0
		.amdhsa_exception_int_div_zero 0
	.end_amdhsa_kernel
	.section	.text._ZL25flash_attn_mask_to_KV_maxILi1EEvPK7__half2Piiii,"axG",@progbits,_ZL25flash_attn_mask_to_KV_maxILi1EEvPK7__half2Piiii,comdat
.Lfunc_end1:
	.size	_ZL25flash_attn_mask_to_KV_maxILi1EEvPK7__half2Piiii, .Lfunc_end1-_ZL25flash_attn_mask_to_KV_maxILi1EEvPK7__half2Piiii
                                        ; -- End function
	.section	.AMDGPU.csdata,"",@progbits
; Kernel info:
; codeLenInByte = 456
; NumSgprs: 18
; NumVgprs: 7
; ScratchSize: 0
; MemoryBound: 0
; FloatMode: 240
; IeeeMode: 1
; LDSByteSize: 128 bytes/workgroup (compile time only)
; SGPRBlocks: 2
; VGPRBlocks: 0
; NumSGPRsForWavesPerEU: 18
; NumVGPRsForWavesPerEU: 7
; Occupancy: 16
; WaveLimiterHint : 0
; COMPUTE_PGM_RSRC2:SCRATCH_EN: 0
; COMPUTE_PGM_RSRC2:USER_SGPR: 14
; COMPUTE_PGM_RSRC2:TRAP_HANDLER: 0
; COMPUTE_PGM_RSRC2:TGID_X_EN: 1
; COMPUTE_PGM_RSRC2:TGID_Y_EN: 1
; COMPUTE_PGM_RSRC2:TGID_Z_EN: 0
; COMPUTE_PGM_RSRC2:TIDIG_COMP_CNT: 0
	.section	.text._ZL33flash_attn_stream_k_fixup_uniformILi64ELi1ELi1EEvPfPK15HIP_vector_typeIfLj2EEiiiiiiS1_IjLj3EES5_S5_,"axG",@progbits,_ZL33flash_attn_stream_k_fixup_uniformILi64ELi1ELi1EEvPfPK15HIP_vector_typeIfLj2EEiiiiiiS1_IjLj3EES5_S5_,comdat
	.globl	_ZL33flash_attn_stream_k_fixup_uniformILi64ELi1ELi1EEvPfPK15HIP_vector_typeIfLj2EEiiiiiiS1_IjLj3EES5_S5_ ; -- Begin function _ZL33flash_attn_stream_k_fixup_uniformILi64ELi1ELi1EEvPfPK15HIP_vector_typeIfLj2EEiiiiiiS1_IjLj3EES5_S5_
	.p2align	8
	.type	_ZL33flash_attn_stream_k_fixup_uniformILi64ELi1ELi1EEvPfPK15HIP_vector_typeIfLj2EEiiiiiiS1_IjLj3EES5_S5_,@function
_ZL33flash_attn_stream_k_fixup_uniformILi64ELi1ELi1EEvPfPK15HIP_vector_typeIfLj2EEiiiiiiS1_IjLj3EES5_S5_: ; @_ZL33flash_attn_stream_k_fixup_uniformILi64ELi1ELi1EEvPfPK15HIP_vector_typeIfLj2EEiiiiiiS1_IjLj3EES5_S5_
; %bb.0:
	s_clause 0x1
	s_load_b256 s[4:11], s[0:1], 0x1c
	s_load_b128 s[16:19], s[0:1], 0x3c
	s_waitcnt lgkmcnt(0)
	s_mul_hi_u32 s2, s7, s13
	s_delay_alu instid0(SALU_CYCLE_1) | instskip(NEXT) | instid1(SALU_CYCLE_1)
	s_add_i32 s2, s13, s2
	s_lshr_b32 s7, s2, s8
	s_delay_alu instid0(SALU_CYCLE_1) | instskip(SKIP_2) | instid1(SALU_CYCLE_1)
	s_mul_i32 s2, s7, s9
	s_load_b64 s[8:9], s[0:1], 0x10
	s_sub_i32 s2, s13, s2
	s_mul_hi_u32 s3, s2, s10
	s_delay_alu instid0(SALU_CYCLE_1) | instskip(NEXT) | instid1(SALU_CYCLE_1)
	s_add_i32 s3, s2, s3
	s_lshr_b32 s10, s3, s11
	s_delay_alu instid0(SALU_CYCLE_1) | instskip(NEXT) | instid1(SALU_CYCLE_1)
	s_mul_i32 s3, s10, s16
	s_sub_i32 s2, s2, s3
	s_delay_alu instid0(SALU_CYCLE_1) | instskip(NEXT) | instid1(SALU_CYCLE_1)
	s_mul_hi_u32 s3, s2, s17
	s_add_i32 s3, s2, s3
	s_delay_alu instid0(SALU_CYCLE_1) | instskip(NEXT) | instid1(SALU_CYCLE_1)
	s_lshr_b32 s12, s3, s18
	s_mul_i32 s3, s12, s19
	s_delay_alu instid0(SALU_CYCLE_1) | instskip(NEXT) | instid1(SALU_CYCLE_1)
	s_sub_i32 s11, s2, s3
	s_add_i32 s11, s11, s14
	s_waitcnt lgkmcnt(0)
	s_cmp_lt_i32 s11, s8
	s_cselect_b32 s2, -1, 0
	s_add_i32 s12, s12, s15
	s_delay_alu instid0(SALU_CYCLE_1) | instskip(SKIP_1) | instid1(SALU_CYCLE_1)
	s_cmp_lt_i32 s12, s5
	s_cselect_b32 s3, -1, 0
	s_and_b32 s2, s2, s3
	s_delay_alu instid0(SALU_CYCLE_1)
	s_and_not1_b32 vcc_lo, exec_lo, s2
	s_cbranch_vccnz .LBB2_6
; %bb.1:
	s_mul_i32 s7, s7, s8
	s_mul_i32 s10, s10, s5
	s_add_i32 s5, s11, s7
	s_load_b128 s[0:3], s[0:1], 0x0
	s_add_i32 s7, s12, s10
	s_mul_i32 s5, s5, s9
	s_delay_alu instid0(SALU_CYCLE_1) | instskip(SKIP_4) | instid1(SALU_CYCLE_1)
	s_add_i32 s7, s7, s5
	s_mul_i32 s5, s13, s6
	v_lshl_or_b32 v1, s7, 6, v0
	s_add_i32 s7, s14, s15
	s_add_i32 s6, s5, s6
	;; [unrolled: 1-line block ×3, first 2 shown]
	s_delay_alu instid0(VALU_DEP_1) | instskip(NEXT) | instid1(VALU_DEP_1)
	v_ashrrev_i32_e32 v2, 31, v1
	v_lshlrev_b64 v[1:2], 2, v[1:2]
	s_waitcnt lgkmcnt(0)
	s_delay_alu instid0(VALU_DEP_1) | instskip(NEXT) | instid1(VALU_DEP_2)
	v_add_co_u32 v1, vcc_lo, s0, v1
	v_add_co_ci_u32_e32 v2, vcc_lo, s1, v2, vcc_lo
	s_add_i32 s0, s8, -1
	s_delay_alu instid0(SALU_CYCLE_1) | instskip(SKIP_2) | instid1(SALU_CYCLE_1)
	s_ashr_i32 s1, s0, 31
	global_load_b32 v5, v[1:2], off
	s_lshl_b64 s[0:1], s[0:1], 3
	s_add_u32 s0, s2, s0
	s_addc_u32 s1, s3, s1
	s_add_i32 s10, s6, -2
	s_load_b32 s9, s[0:1], 0x4
	s_cmp_lt_i32 s10, s5
	s_cbranch_scc1 .LBB2_4
; %bb.2:
	s_load_b32 s10, s[0:1], 0x0
	v_lshl_or_b32 v0, s8, 6, v0
	s_lshl_b32 s0, s4, 2
	s_waitcnt lgkmcnt(0)
	v_mov_b32_e32 v6, s9
	s_ashr_i32 s1, s0, 31
	s_delay_alu instid0(SALU_CYCLE_1)
	s_lshl_b64 s[0:1], s[0:1], 2
	v_add_nc_u32_e32 v3, 0xffffff80, v0
	s_add_u32 s0, s2, s0
	s_addc_u32 s1, s3, s1
	s_add_i32 s6, s6, -1
	s_add_i32 s4, s7, s4
	v_mov_b32_e32 v0, s10
.LBB2_3:                                ; =>This Inner Loop Header: Depth=1
	v_ashrrev_i32_e32 v4, 31, v3
	s_add_i32 s6, s6, -1
	s_delay_alu instid0(SALU_CYCLE_1) | instskip(NEXT) | instid1(SALU_CYCLE_1)
	s_add_i32 s8, s6, s4
	s_ashr_i32 s9, s8, 31
	s_delay_alu instid0(VALU_DEP_1)
	v_lshlrev_b64 v[7:8], 2, v[3:4]
	s_lshl_b64 s[8:9], s[8:9], 3
	v_subrev_nc_u32_e32 v3, 64, v3
	s_add_u32 s8, s2, s8
	s_addc_u32 s9, s3, s9
	s_cmp_le_i32 s6, s5
	v_add_co_u32 v7, vcc_lo, s0, v7
	v_add_co_ci_u32_e32 v8, vcc_lo, s1, v8, vcc_lo
	s_load_b64 s[8:9], s[8:9], 0x0
	global_load_b32 v4, v[7:8], off
	v_max_f32_e32 v7, v0, v0
	s_waitcnt lgkmcnt(0)
	v_max_f32_e64 v8, s8, s8
	s_delay_alu instid0(VALU_DEP_1) | instskip(NEXT) | instid1(VALU_DEP_1)
	v_max_f32_e32 v7, v7, v8
	v_sub_f32_e32 v8, s8, v7
	s_delay_alu instid0(VALU_DEP_1) | instskip(NEXT) | instid1(VALU_DEP_1)
	v_dual_sub_f32 v0, v0, v7 :: v_dual_mul_f32 v9, 0x3fb8aa3b, v8
	v_fma_f32 v10, 0x3fb8aa3b, v8, -v9
	v_rndne_f32_e32 v11, v9
	s_delay_alu instid0(VALU_DEP_3) | instskip(NEXT) | instid1(VALU_DEP_2)
	v_mul_f32_e32 v12, 0x3fb8aa3b, v0
	v_dual_fmac_f32 v10, 0x32a5705f, v8 :: v_dual_sub_f32 v9, v9, v11
	v_cvt_i32_f32_e32 v11, v11
	s_delay_alu instid0(VALU_DEP_3) | instskip(SKIP_1) | instid1(VALU_DEP_4)
	v_fma_f32 v13, 0x3fb8aa3b, v0, -v12
	v_rndne_f32_e32 v14, v12
	v_add_f32_e32 v9, v9, v10
	v_cmp_ngt_f32_e32 vcc_lo, 0xc2ce8ed0, v8
	s_delay_alu instid0(VALU_DEP_3) | instskip(NEXT) | instid1(VALU_DEP_3)
	v_sub_f32_e32 v10, v12, v14
	v_exp_f32_e32 v9, v9
	s_waitcnt_depctr 0xfff
	v_ldexp_f32 v9, v9, v11
	v_cvt_i32_f32_e32 v11, v14
	s_delay_alu instid0(VALU_DEP_2) | instskip(SKIP_1) | instid1(VALU_DEP_2)
	v_cndmask_b32_e32 v9, 0, v9, vcc_lo
	v_cmp_nlt_f32_e32 vcc_lo, 0x42b17218, v8
	v_cndmask_b32_e32 v9, 0x7f800000, v9, vcc_lo
	v_cmp_ngt_f32_e32 vcc_lo, 0xc2ce8ed0, v0
	v_fmac_f32_e32 v13, 0x32a5705f, v0
	s_delay_alu instid0(VALU_DEP_1) | instskip(NEXT) | instid1(VALU_DEP_1)
	v_add_f32_e32 v10, v10, v13
	v_exp_f32_e32 v10, v10
	s_waitcnt_depctr 0xfff
	v_ldexp_f32 v10, v10, v11
	s_delay_alu instid0(VALU_DEP_1)
	v_dual_mov_b32 v11, v6 :: v_dual_cndmask_b32 v10, 0, v10
	v_cmp_le_f32_e32 vcc_lo, 0xc1a00000, v8
	s_waitcnt vmcnt(1)
	v_dual_cndmask_b32 v8, 0, v9 :: v_dual_mov_b32 v9, v5
	v_cmp_nlt_f32_e32 vcc_lo, 0x42b17218, v0
	v_cndmask_b32_e32 v5, 0x7f800000, v10, vcc_lo
	s_delay_alu instid0(VALU_DEP_3) | instskip(SKIP_2) | instid1(VALU_DEP_3)
	v_mul_f32_e32 v10, s9, v8
	v_cmp_le_f32_e32 vcc_lo, 0xc1a00000, v0
	v_mov_b32_e32 v0, v7
	v_mov_b32_e32 v6, v10
	s_waitcnt vmcnt(0)
	v_dual_cndmask_b32 v12, 0, v5 :: v_dual_mul_f32 v5, v4, v8
	s_delay_alu instid0(VALU_DEP_1) | instskip(NEXT) | instid1(VALU_DEP_2)
	v_fmac_f32_e32 v6, v11, v12
	v_fmac_f32_e32 v5, v9, v12
	s_cbranch_scc0 .LBB2_3
	s_branch .LBB2_5
.LBB2_4:
	s_waitcnt lgkmcnt(0)
	v_mov_b32_e32 v6, s9
.LBB2_5:
	s_waitcnt vmcnt(0)
	s_delay_alu instid0(VALU_DEP_1) | instskip(NEXT) | instid1(VALU_DEP_1)
	v_div_scale_f32 v0, null, v6, v6, v5
	v_rcp_f32_e32 v3, v0
	s_waitcnt_depctr 0xfff
	v_fma_f32 v4, -v0, v3, 1.0
	s_delay_alu instid0(VALU_DEP_1) | instskip(SKIP_1) | instid1(VALU_DEP_1)
	v_fmac_f32_e32 v3, v4, v3
	v_div_scale_f32 v4, vcc_lo, v5, v6, v5
	v_mul_f32_e32 v7, v4, v3
	s_delay_alu instid0(VALU_DEP_1) | instskip(NEXT) | instid1(VALU_DEP_1)
	v_fma_f32 v8, -v0, v7, v4
	v_fmac_f32_e32 v7, v8, v3
	s_delay_alu instid0(VALU_DEP_1) | instskip(NEXT) | instid1(VALU_DEP_1)
	v_fma_f32 v0, -v0, v7, v4
	v_div_fmas_f32 v0, v0, v3, v7
	s_delay_alu instid0(VALU_DEP_1)
	v_div_fixup_f32 v0, v0, v6, v5
	global_store_b32 v[1:2], v0, off
.LBB2_6:
	s_nop 0
	s_sendmsg sendmsg(MSG_DEALLOC_VGPRS)
	s_endpgm
	.section	.rodata,"a",@progbits
	.p2align	6, 0x0
	.amdhsa_kernel _ZL33flash_attn_stream_k_fixup_uniformILi64ELi1ELi1EEvPfPK15HIP_vector_typeIfLj2EEiiiiiiS1_IjLj3EES5_S5_
		.amdhsa_group_segment_fixed_size 0
		.amdhsa_private_segment_fixed_size 0
		.amdhsa_kernarg_size 76
		.amdhsa_user_sgpr_count 13
		.amdhsa_user_sgpr_dispatch_ptr 0
		.amdhsa_user_sgpr_queue_ptr 0
		.amdhsa_user_sgpr_kernarg_segment_ptr 1
		.amdhsa_user_sgpr_dispatch_id 0
		.amdhsa_user_sgpr_private_segment_size 0
		.amdhsa_wavefront_size32 1
		.amdhsa_uses_dynamic_stack 0
		.amdhsa_enable_private_segment 0
		.amdhsa_system_sgpr_workgroup_id_x 1
		.amdhsa_system_sgpr_workgroup_id_y 1
		.amdhsa_system_sgpr_workgroup_id_z 1
		.amdhsa_system_sgpr_workgroup_info 0
		.amdhsa_system_vgpr_workitem_id 0
		.amdhsa_next_free_vgpr 15
		.amdhsa_next_free_sgpr 20
		.amdhsa_reserve_vcc 1
		.amdhsa_float_round_mode_32 0
		.amdhsa_float_round_mode_16_64 0
		.amdhsa_float_denorm_mode_32 3
		.amdhsa_float_denorm_mode_16_64 3
		.amdhsa_dx10_clamp 1
		.amdhsa_ieee_mode 1
		.amdhsa_fp16_overflow 0
		.amdhsa_workgroup_processor_mode 1
		.amdhsa_memory_ordered 1
		.amdhsa_forward_progress 0
		.amdhsa_shared_vgpr_count 0
		.amdhsa_exception_fp_ieee_invalid_op 0
		.amdhsa_exception_fp_denorm_src 0
		.amdhsa_exception_fp_ieee_div_zero 0
		.amdhsa_exception_fp_ieee_overflow 0
		.amdhsa_exception_fp_ieee_underflow 0
		.amdhsa_exception_fp_ieee_inexact 0
		.amdhsa_exception_int_div_zero 0
	.end_amdhsa_kernel
	.section	.text._ZL33flash_attn_stream_k_fixup_uniformILi64ELi1ELi1EEvPfPK15HIP_vector_typeIfLj2EEiiiiiiS1_IjLj3EES5_S5_,"axG",@progbits,_ZL33flash_attn_stream_k_fixup_uniformILi64ELi1ELi1EEvPfPK15HIP_vector_typeIfLj2EEiiiiiiS1_IjLj3EES5_S5_,comdat
.Lfunc_end2:
	.size	_ZL33flash_attn_stream_k_fixup_uniformILi64ELi1ELi1EEvPfPK15HIP_vector_typeIfLj2EEiiiiiiS1_IjLj3EES5_S5_, .Lfunc_end2-_ZL33flash_attn_stream_k_fixup_uniformILi64ELi1ELi1EEvPfPK15HIP_vector_typeIfLj2EEiiiiiiS1_IjLj3EES5_S5_
                                        ; -- End function
	.section	.AMDGPU.csdata,"",@progbits
; Kernel info:
; codeLenInByte = 908
; NumSgprs: 22
; NumVgprs: 15
; ScratchSize: 0
; MemoryBound: 0
; FloatMode: 240
; IeeeMode: 1
; LDSByteSize: 0 bytes/workgroup (compile time only)
; SGPRBlocks: 2
; VGPRBlocks: 1
; NumSGPRsForWavesPerEU: 22
; NumVGPRsForWavesPerEU: 15
; Occupancy: 16
; WaveLimiterHint : 0
; COMPUTE_PGM_RSRC2:SCRATCH_EN: 0
; COMPUTE_PGM_RSRC2:USER_SGPR: 13
; COMPUTE_PGM_RSRC2:TRAP_HANDLER: 0
; COMPUTE_PGM_RSRC2:TGID_X_EN: 1
; COMPUTE_PGM_RSRC2:TGID_Y_EN: 1
; COMPUTE_PGM_RSRC2:TGID_Z_EN: 1
; COMPUTE_PGM_RSRC2:TIDIG_COMP_CNT: 0
	.section	.text._ZL33flash_attn_stream_k_fixup_generalILi64ELi1ELi1EEvPfPK15HIP_vector_typeIfLj2EEiiiiS1_IjLj3EES5_S5_S5_,"axG",@progbits,_ZL33flash_attn_stream_k_fixup_generalILi64ELi1ELi1EEvPfPK15HIP_vector_typeIfLj2EEiiiiS1_IjLj3EES5_S5_S5_,comdat
	.globl	_ZL33flash_attn_stream_k_fixup_generalILi64ELi1ELi1EEvPfPK15HIP_vector_typeIfLj2EEiiiiS1_IjLj3EES5_S5_S5_ ; -- Begin function _ZL33flash_attn_stream_k_fixup_generalILi64ELi1ELi1EEvPfPK15HIP_vector_typeIfLj2EEiiiiS1_IjLj3EES5_S5_S5_
	.p2align	8
	.type	_ZL33flash_attn_stream_k_fixup_generalILi64ELi1ELi1EEvPfPK15HIP_vector_typeIfLj2EEiiiiS1_IjLj3EES5_S5_S5_,@function
_ZL33flash_attn_stream_k_fixup_generalILi64ELi1ELi1EEvPfPK15HIP_vector_typeIfLj2EEiiiiS1_IjLj3EES5_S5_S5_: ; @_ZL33flash_attn_stream_k_fixup_generalILi64ELi1ELi1EEvPfPK15HIP_vector_typeIfLj2EEiiiiS1_IjLj3EES5_S5_S5_
; %bb.0:
	s_clause 0x1
	s_load_b128 s[4:7], s[0:1], 0x10
	s_load_b32 s20, s[0:1], 0x50
	s_mov_b32 s2, 0
	s_waitcnt lgkmcnt(0)
	s_mul_hi_i32 s3, s7, s13
	s_mul_i32 s12, s7, s13
	s_cmp_lg_u64 s[2:3], 0
	s_cbranch_scc0 .LBB3_21
; %bb.1:
	v_cvt_f32_ubyte0_e32 v1, 0
	v_cvt_f32_u32_e32 v2, s20
	s_sub_u32 s10, 0, s20
	s_subb_u32 s11, 0, 0
	s_delay_alu instid0(VALU_DEP_1) | instskip(NEXT) | instid1(VALU_DEP_1)
	v_fmamk_f32 v1, v1, 0x4f800000, v2
	v_rcp_f32_e32 v1, v1
	s_waitcnt_depctr 0xfff
	v_mul_f32_e32 v1, 0x5f7ffffc, v1
	s_delay_alu instid0(VALU_DEP_1) | instskip(NEXT) | instid1(VALU_DEP_1)
	v_mul_f32_e32 v2, 0x2f800000, v1
	v_trunc_f32_e32 v2, v2
	s_delay_alu instid0(VALU_DEP_1) | instskip(SKIP_1) | instid1(VALU_DEP_2)
	v_fmamk_f32 v1, v2, 0xcf800000, v1
	v_cvt_u32_f32_e32 v2, v2
	v_cvt_u32_f32_e32 v1, v1
	s_delay_alu instid0(VALU_DEP_2) | instskip(NEXT) | instid1(VALU_DEP_2)
	v_readfirstlane_b32 s8, v2
	v_readfirstlane_b32 s9, v1
	s_delay_alu instid0(VALU_DEP_2) | instskip(NEXT) | instid1(VALU_DEP_1)
	s_mul_i32 s16, s10, s8
	s_mul_hi_u32 s18, s10, s9
	s_mul_i32 s17, s11, s9
	s_add_i32 s16, s18, s16
	s_mul_i32 s19, s10, s9
	s_add_i32 s16, s16, s17
	s_mul_hi_u32 s18, s9, s19
	s_mul_hi_u32 s21, s8, s19
	s_mul_i32 s17, s8, s19
	s_mul_hi_u32 s19, s9, s16
	s_mul_i32 s9, s9, s16
	s_mul_hi_u32 s22, s8, s16
	s_add_u32 s9, s18, s9
	s_addc_u32 s18, 0, s19
	s_add_u32 s9, s9, s17
	s_mul_i32 s16, s8, s16
	s_addc_u32 s9, s18, s21
	s_addc_u32 s17, s22, 0
	s_add_u32 s9, s9, s16
	s_addc_u32 s16, 0, s17
	v_add_co_u32 v1, s9, v1, s9
	s_delay_alu instid0(VALU_DEP_1) | instskip(SKIP_1) | instid1(VALU_DEP_1)
	s_cmp_lg_u32 s9, 0
	s_addc_u32 s8, s8, s16
	v_readfirstlane_b32 s9, v1
	s_mul_i32 s16, s10, s8
	s_delay_alu instid0(VALU_DEP_1)
	s_mul_hi_u32 s17, s10, s9
	s_mul_i32 s11, s11, s9
	s_add_i32 s16, s17, s16
	s_mul_i32 s10, s10, s9
	s_add_i32 s16, s16, s11
	s_mul_hi_u32 s17, s8, s10
	s_mul_i32 s18, s8, s10
	s_mul_hi_u32 s10, s9, s10
	s_mul_hi_u32 s19, s9, s16
	s_mul_i32 s9, s9, s16
	s_mul_hi_u32 s11, s8, s16
	s_add_u32 s9, s10, s9
	s_addc_u32 s10, 0, s19
	s_add_u32 s9, s9, s18
	s_mul_i32 s16, s8, s16
	s_addc_u32 s9, s10, s17
	s_addc_u32 s10, s11, 0
	s_add_u32 s9, s9, s16
	s_addc_u32 s10, 0, s10
	v_add_co_u32 v1, s9, v1, s9
	s_delay_alu instid0(VALU_DEP_1) | instskip(SKIP_2) | instid1(SALU_CYCLE_1)
	s_cmp_lg_u32 s9, 0
	s_addc_u32 s16, s8, s10
	s_ashr_i32 s8, s3, 31
	s_add_u32 s10, s12, s8
	s_addc_u32 s11, s3, s8
	v_readfirstlane_b32 s3, v1
	s_mov_b32 s9, s8
	s_delay_alu instid0(SALU_CYCLE_1) | instskip(NEXT) | instid1(SALU_CYCLE_1)
	s_xor_b64 s[10:11], s[10:11], s[8:9]
	s_mul_i32 s18, s10, s16
	s_delay_alu instid0(VALU_DEP_1)
	s_mul_hi_u32 s19, s10, s3
	s_mul_hi_u32 s17, s10, s16
	;; [unrolled: 1-line block ×3, first 2 shown]
	s_mul_i32 s3, s11, s3
	s_add_u32 s18, s19, s18
	s_addc_u32 s17, 0, s17
	s_mul_hi_u32 s21, s11, s16
	s_add_u32 s3, s18, s3
	s_mul_i32 s16, s11, s16
	s_addc_u32 s3, s17, s22
	s_addc_u32 s17, s21, 0
	s_add_u32 s3, s3, s16
	s_addc_u32 s16, 0, s17
	s_mul_i32 s18, s20, s3
	s_add_u32 s17, s3, 1
	v_sub_co_u32 v1, s10, s10, s18
	s_mul_hi_u32 s18, s20, s3
	s_addc_u32 s19, s16, 0
	s_mul_i32 s21, s20, s16
	s_delay_alu instid0(VALU_DEP_1)
	v_sub_co_u32 v2, s22, v1, s20
	s_add_u32 s23, s3, 2
	s_addc_u32 s24, s16, 0
	s_add_i32 s18, s18, s21
	s_cmp_lg_u32 s10, 0
	v_readfirstlane_b32 s10, v2
	s_subb_u32 s11, s11, s18
	s_cmp_lg_u32 s22, 0
	s_subb_u32 s18, s11, 0
	s_delay_alu instid0(VALU_DEP_1) | instskip(SKIP_4) | instid1(SALU_CYCLE_1)
	s_cmp_ge_u32 s10, s20
	s_cselect_b32 s10, -1, 0
	s_cmp_eq_u32 s18, 0
	v_readfirstlane_b32 s18, v1
	s_cselect_b32 s10, s10, -1
	s_cmp_lg_u32 s10, 0
	s_cselect_b32 s10, s23, s17
	s_cselect_b32 s17, s24, s19
	s_cmp_ge_u32 s18, s20
	s_cselect_b32 s18, -1, 0
	s_cmp_eq_u32 s11, 0
	s_cselect_b32 s11, s18, -1
	s_delay_alu instid0(SALU_CYCLE_1) | instskip(SKIP_2) | instid1(SALU_CYCLE_1)
	s_cmp_lg_u32 s11, 0
	s_cselect_b32 s11, s17, s16
	s_cselect_b32 s10, s10, s3
	s_xor_b64 s[10:11], s[10:11], s[8:9]
	s_delay_alu instid0(SALU_CYCLE_1)
	s_sub_u32 s16, s10, s8
	s_load_b128 s[8:11], s[0:1], 0x44
	s_and_not1_b32 vcc_lo, exec_lo, s2
	s_cbranch_vccnz .LBB3_3
.LBB3_2:
	v_cvt_f32_u32_e32 v1, s20
	s_sub_i32 s3, 0, s20
	s_delay_alu instid0(VALU_DEP_1) | instskip(SKIP_2) | instid1(VALU_DEP_1)
	v_rcp_iflag_f32_e32 v1, v1
	s_waitcnt_depctr 0xfff
	v_mul_f32_e32 v1, 0x4f7ffffe, v1
	v_cvt_u32_f32_e32 v1, v1
	s_delay_alu instid0(VALU_DEP_1) | instskip(NEXT) | instid1(VALU_DEP_1)
	v_readfirstlane_b32 s2, v1
	s_mul_i32 s3, s3, s2
	s_delay_alu instid0(SALU_CYCLE_1) | instskip(NEXT) | instid1(SALU_CYCLE_1)
	s_mul_hi_u32 s3, s2, s3
	s_add_i32 s2, s2, s3
	s_delay_alu instid0(SALU_CYCLE_1) | instskip(NEXT) | instid1(SALU_CYCLE_1)
	s_mul_hi_u32 s2, s12, s2
	s_mul_i32 s3, s2, s20
	s_waitcnt lgkmcnt(0)
	s_add_i32 s11, s2, 1
	s_sub_i32 s3, s12, s3
	s_delay_alu instid0(SALU_CYCLE_1)
	s_sub_i32 s12, s3, s20
	s_cmp_ge_u32 s3, s20
	s_cselect_b32 s2, s11, s2
	s_cselect_b32 s3, s12, s3
	s_add_i32 s11, s2, 1
	s_cmp_ge_u32 s3, s20
	s_cselect_b32 s16, s11, s2
.LBB3_3:
	s_waitcnt lgkmcnt(0)
	s_add_i32 s11, s13, 1
	s_mov_b32 s2, 0
	s_mul_hi_i32 s3, s7, s11
	s_mul_i32 s11, s7, s11
	s_cmp_lg_u64 s[2:3], 0
	s_cbranch_scc0 .LBB3_22
; %bb.4:
	v_cvt_f32_ubyte0_e32 v1, 0
	v_cvt_f32_u32_e32 v2, s20
	s_sub_u32 s18, 0, s20
	s_subb_u32 s19, 0, 0
	s_delay_alu instid0(VALU_DEP_1) | instskip(NEXT) | instid1(VALU_DEP_1)
	v_fmamk_f32 v1, v1, 0x4f800000, v2
	v_rcp_f32_e32 v1, v1
	s_waitcnt_depctr 0xfff
	v_mul_f32_e32 v1, 0x5f7ffffc, v1
	s_delay_alu instid0(VALU_DEP_1) | instskip(NEXT) | instid1(VALU_DEP_1)
	v_mul_f32_e32 v2, 0x2f800000, v1
	v_trunc_f32_e32 v2, v2
	s_delay_alu instid0(VALU_DEP_1) | instskip(SKIP_1) | instid1(VALU_DEP_2)
	v_fmamk_f32 v1, v2, 0xcf800000, v1
	v_cvt_u32_f32_e32 v2, v2
	v_cvt_u32_f32_e32 v1, v1
	s_delay_alu instid0(VALU_DEP_2) | instskip(NEXT) | instid1(VALU_DEP_2)
	v_readfirstlane_b32 s12, v2
	v_readfirstlane_b32 s17, v1
	s_delay_alu instid0(VALU_DEP_2) | instskip(NEXT) | instid1(VALU_DEP_1)
	s_mul_i32 s21, s18, s12
	s_mul_hi_u32 s23, s18, s17
	s_mul_i32 s22, s19, s17
	s_add_i32 s21, s23, s21
	s_mul_i32 s24, s18, s17
	s_add_i32 s21, s21, s22
	s_mul_hi_u32 s23, s17, s24
	s_mul_hi_u32 s25, s12, s24
	s_mul_i32 s22, s12, s24
	s_mul_hi_u32 s24, s17, s21
	s_mul_i32 s17, s17, s21
	s_mul_hi_u32 s26, s12, s21
	s_add_u32 s17, s23, s17
	s_addc_u32 s23, 0, s24
	s_add_u32 s17, s17, s22
	s_mul_i32 s21, s12, s21
	s_addc_u32 s17, s23, s25
	s_addc_u32 s22, s26, 0
	s_add_u32 s17, s17, s21
	s_addc_u32 s21, 0, s22
	v_add_co_u32 v1, s17, v1, s17
	s_delay_alu instid0(VALU_DEP_1) | instskip(SKIP_1) | instid1(VALU_DEP_1)
	s_cmp_lg_u32 s17, 0
	s_addc_u32 s12, s12, s21
	v_readfirstlane_b32 s17, v1
	s_mul_i32 s21, s18, s12
	s_delay_alu instid0(VALU_DEP_1)
	s_mul_hi_u32 s22, s18, s17
	s_mul_i32 s19, s19, s17
	s_add_i32 s21, s22, s21
	s_mul_i32 s18, s18, s17
	s_add_i32 s21, s21, s19
	s_mul_hi_u32 s22, s12, s18
	s_mul_i32 s23, s12, s18
	s_mul_hi_u32 s18, s17, s18
	s_mul_hi_u32 s24, s17, s21
	s_mul_i32 s17, s17, s21
	s_mul_hi_u32 s19, s12, s21
	s_add_u32 s17, s18, s17
	s_addc_u32 s18, 0, s24
	s_add_u32 s17, s17, s23
	s_mul_i32 s21, s12, s21
	s_addc_u32 s17, s18, s22
	s_addc_u32 s18, s19, 0
	s_add_u32 s17, s17, s21
	s_addc_u32 s18, 0, s18
	v_add_co_u32 v1, s17, v1, s17
	s_delay_alu instid0(VALU_DEP_1) | instskip(SKIP_2) | instid1(SALU_CYCLE_1)
	s_cmp_lg_u32 s17, 0
	s_addc_u32 s12, s12, s18
	s_ashr_i32 s18, s3, 31
	s_add_u32 s22, s11, s18
	s_addc_u32 s23, s3, s18
	v_readfirstlane_b32 s3, v1
	s_mov_b32 s19, s18
	s_delay_alu instid0(SALU_CYCLE_1) | instskip(NEXT) | instid1(SALU_CYCLE_1)
	s_xor_b64 s[22:23], s[22:23], s[18:19]
	s_mul_i32 s21, s22, s12
	s_delay_alu instid0(VALU_DEP_1)
	s_mul_hi_u32 s24, s22, s3
	s_mul_hi_u32 s17, s22, s12
	;; [unrolled: 1-line block ×3, first 2 shown]
	s_mul_i32 s3, s23, s3
	s_add_u32 s21, s24, s21
	s_addc_u32 s17, 0, s17
	s_mul_hi_u32 s25, s23, s12
	s_add_u32 s3, s21, s3
	s_mul_i32 s12, s23, s12
	s_addc_u32 s3, s17, s26
	s_addc_u32 s17, s25, 0
	s_add_u32 s3, s3, s12
	s_addc_u32 s12, 0, s17
	s_mul_i32 s21, s20, s3
	s_add_u32 s17, s3, 1
	v_sub_co_u32 v1, s21, s22, s21
	s_mul_hi_u32 s22, s20, s3
	s_addc_u32 s24, s12, 0
	s_mul_i32 s25, s20, s12
	s_delay_alu instid0(VALU_DEP_1)
	v_sub_co_u32 v2, s26, v1, s20
	s_add_u32 s27, s3, 2
	s_addc_u32 s28, s12, 0
	s_add_i32 s22, s22, s25
	s_cmp_lg_u32 s21, 0
	v_readfirstlane_b32 s21, v2
	s_subb_u32 s22, s23, s22
	s_cmp_lg_u32 s26, 0
	s_subb_u32 s23, s22, 0
	s_delay_alu instid0(VALU_DEP_1) | instskip(SKIP_4) | instid1(SALU_CYCLE_1)
	s_cmp_ge_u32 s21, s20
	s_cselect_b32 s21, -1, 0
	s_cmp_eq_u32 s23, 0
	v_readfirstlane_b32 s23, v1
	s_cselect_b32 s21, s21, -1
	s_cmp_lg_u32 s21, 0
	s_cselect_b32 s17, s27, s17
	s_cselect_b32 s21, s28, s24
	s_cmp_ge_u32 s23, s20
	s_cselect_b32 s23, -1, 0
	s_cmp_eq_u32 s22, 0
	s_cselect_b32 s22, s23, -1
	s_delay_alu instid0(SALU_CYCLE_1) | instskip(SKIP_2) | instid1(SALU_CYCLE_1)
	s_cmp_lg_u32 s22, 0
	s_cselect_b32 s23, s21, s12
	s_cselect_b32 s22, s17, s3
	s_xor_b64 s[22:23], s[22:23], s[18:19]
	s_delay_alu instid0(SALU_CYCLE_1)
	s_sub_u32 s18, s22, s18
	s_and_not1_b32 vcc_lo, exec_lo, s2
	s_cbranch_vccnz .LBB3_6
.LBB3_5:
	v_cvt_f32_u32_e32 v1, s20
	s_sub_i32 s3, 0, s20
	s_delay_alu instid0(VALU_DEP_1) | instskip(SKIP_2) | instid1(VALU_DEP_1)
	v_rcp_iflag_f32_e32 v1, v1
	s_waitcnt_depctr 0xfff
	v_mul_f32_e32 v1, 0x4f7ffffe, v1
	v_cvt_u32_f32_e32 v1, v1
	s_delay_alu instid0(VALU_DEP_1) | instskip(NEXT) | instid1(VALU_DEP_1)
	v_readfirstlane_b32 s2, v1
	s_mul_i32 s3, s3, s2
	s_delay_alu instid0(SALU_CYCLE_1) | instskip(NEXT) | instid1(SALU_CYCLE_1)
	s_mul_hi_u32 s3, s2, s3
	s_add_i32 s2, s2, s3
	s_delay_alu instid0(SALU_CYCLE_1) | instskip(NEXT) | instid1(SALU_CYCLE_1)
	s_mul_hi_u32 s2, s11, s2
	s_mul_i32 s3, s2, s20
	s_delay_alu instid0(SALU_CYCLE_1)
	s_sub_i32 s3, s11, s3
	s_add_i32 s11, s2, 1
	s_sub_i32 s12, s3, s20
	s_cmp_ge_u32 s3, s20
	s_cselect_b32 s2, s11, s2
	s_cselect_b32 s3, s12, s3
	s_add_i32 s11, s2, 1
	s_cmp_ge_u32 s3, s20
	s_cselect_b32 s18, s11, s2
.LBB3_6:
	s_delay_alu instid0(SALU_CYCLE_1) | instskip(SKIP_3) | instid1(SALU_CYCLE_1)
	s_cmp_eq_u32 s16, s18
	s_mul_hi_u32 s2, s16, s8
	s_cselect_b32 s3, -1, 0
	s_add_i32 s2, s2, s16
	s_lshr_b32 s11, s2, s9
	s_delay_alu instid0(SALU_CYCLE_1) | instskip(NEXT) | instid1(SALU_CYCLE_1)
	s_mul_i32 s2, s11, s10
	s_cmp_eq_u32 s2, s16
	s_mul_hi_u32 s2, s18, s8
	s_cselect_b32 s12, -1, 0
	s_add_i32 s2, s2, s18
	s_delay_alu instid0(SALU_CYCLE_1) | instskip(NEXT) | instid1(SALU_CYCLE_1)
	s_lshr_b32 s2, s2, s9
	s_cmp_eq_u32 s11, s2
	s_mul_i32 s2, s2, s10
	s_cselect_b32 s17, -1, 0
	s_cmp_lg_u32 s2, s18
	s_cselect_b32 s2, -1, 0
	s_or_b32 s3, s3, s12
	s_and_b32 s2, s17, s2
	s_delay_alu instid0(SALU_CYCLE_1) | instskip(NEXT) | instid1(SALU_CYCLE_1)
	s_or_b32 s2, s3, s2
	s_and_b32 vcc_lo, exec_lo, s2
	s_cbranch_vccnz .LBB3_24
; %bb.7:
	s_load_b256 s[24:31], s[0:1], 0x20
	s_waitcnt lgkmcnt(0)
	s_mul_hi_u32 s2, s16, s24
	s_delay_alu instid0(SALU_CYCLE_1) | instskip(NEXT) | instid1(SALU_CYCLE_1)
	s_add_i32 s2, s2, s16
	s_lshr_b32 s17, s2, s25
	s_load_b32 s2, s[0:1], 0x40
	s_mul_i32 s3, s17, s26
	s_delay_alu instid0(SALU_CYCLE_1) | instskip(NEXT) | instid1(SALU_CYCLE_1)
	s_sub_i32 s3, s16, s3
	s_mul_hi_u32 s12, s3, s27
	s_delay_alu instid0(SALU_CYCLE_1) | instskip(NEXT) | instid1(SALU_CYCLE_1)
	s_add_i32 s12, s3, s12
	s_lshr_b32 s18, s12, s28
	s_delay_alu instid0(SALU_CYCLE_1) | instskip(NEXT) | instid1(SALU_CYCLE_1)
	s_mul_i32 s12, s18, s29
	s_sub_i32 s3, s3, s12
	s_delay_alu instid0(SALU_CYCLE_1) | instskip(NEXT) | instid1(SALU_CYCLE_1)
	s_mul_hi_u32 s12, s3, s30
	s_add_i32 s12, s3, s12
	s_delay_alu instid0(SALU_CYCLE_1) | instskip(SKIP_3) | instid1(SALU_CYCLE_1)
	s_lshr_b32 s21, s12, s31
	s_mov_b32 s12, 0
	s_waitcnt lgkmcnt(0)
	s_mul_i32 s2, s21, s2
	s_sub_i32 s2, s3, s2
	s_delay_alu instid0(SALU_CYCLE_1) | instskip(NEXT) | instid1(SALU_CYCLE_1)
	s_mul_hi_u32 s3, s2, s8
	s_add_i32 s2, s2, s3
	s_delay_alu instid0(SALU_CYCLE_1) | instskip(NEXT) | instid1(SALU_CYCLE_1)
	s_lshr_b32 s19, s2, s9
	s_add_i32 s19, s19, s14
	s_delay_alu instid0(SALU_CYCLE_1) | instskip(SKIP_2) | instid1(SALU_CYCLE_1)
	s_cmp_lt_i32 s19, s4
	s_cselect_b32 s2, -1, 0
	s_add_i32 s21, s21, s15
	s_cmp_lt_i32 s21, s6
	s_cselect_b32 s3, -1, 0
	s_delay_alu instid0(SALU_CYCLE_1) | instskip(NEXT) | instid1(SALU_CYCLE_1)
	s_and_b32 s2, s2, s3
	s_and_not1_b32 vcc_lo, exec_lo, s2
	s_cbranch_vccnz .LBB3_24
; %bb.8:
	s_load_b128 s[0:3], s[0:1], 0x0
	s_lshl_b32 s22, s20, 2
	s_mov_b32 s23, s12
	s_add_i32 s14, s14, s15
	s_lshl_b64 s[22:23], s[22:23], 2
	s_mul_i32 s17, s17, s4
	s_mul_i32 s18, s18, s6
	v_cvt_f32_ubyte0_e32 v4, 0
	v_cvt_f32_u32_e32 v5, s20
	s_waitcnt lgkmcnt(0)
	s_add_u32 s6, s2, s22
	s_addc_u32 s15, s3, s23
	s_add_i32 s4, s19, s17
	s_add_i32 s17, s21, s18
	s_mul_i32 s4, s4, s5
	s_delay_alu instid0(SALU_CYCLE_1) | instskip(NEXT) | instid1(SALU_CYCLE_1)
	s_add_i32 s17, s17, s4
	v_lshl_or_b32 v1, s17, 6, v0
	s_delay_alu instid0(VALU_DEP_1) | instskip(NEXT) | instid1(VALU_DEP_1)
	v_ashrrev_i32_e32 v2, 31, v1
	v_lshlrev_b64 v[1:2], 2, v[1:2]
	s_delay_alu instid0(VALU_DEP_1) | instskip(NEXT) | instid1(VALU_DEP_2)
	v_add_co_u32 v1, vcc_lo, s0, v1
	v_add_co_ci_u32_e32 v2, vcc_lo, s1, v2, vcc_lo
	s_add_i32 s0, s14, s13
	s_delay_alu instid0(SALU_CYCLE_1) | instskip(SKIP_2) | instid1(SALU_CYCLE_1)
	s_ashr_i32 s1, s0, 31
	global_load_b32 v3, v[1:2], off
	s_lshl_b64 s[0:1], s[0:1], 3
	s_add_u32 s0, s2, s0
	s_addc_u32 s1, s3, s1
	s_add_i32 s18, s13, -1
	s_load_b64 s[0:1], s[0:1], 0x0
	v_fmac_f32_e32 v5, 0x4f800000, v4
	s_sub_i32 s17, 0, s20
	s_waitcnt lgkmcnt(0)
	v_mov_b32_e32 v8, s0
	s_delay_alu instid0(VALU_DEP_2) | instskip(SKIP_2) | instid1(VALU_DEP_2)
	v_rcp_f32_e32 v4, v5
	v_cvt_f32_u32_e32 v5, s20
	v_mov_b32_e32 v7, s1
	v_rcp_iflag_f32_e32 v5, v5
	s_waitcnt_depctr 0xfff
	v_mul_f32_e32 v4, 0x5f7ffffc, v4
	s_delay_alu instid0(VALU_DEP_1) | instskip(SKIP_1) | instid1(VALU_DEP_2)
	v_mul_f32_e32 v6, 0x2f800000, v4
	v_mul_f32_e32 v9, 0x4f7ffffe, v5
	v_trunc_f32_e32 v6, v6
	s_delay_alu instid0(VALU_DEP_1) | instskip(SKIP_1) | instid1(VALU_DEP_4)
	v_fmac_f32_e32 v4, 0xcf800000, v6
	v_cvt_u32_f32_e32 v5, v6
	v_cvt_u32_f32_e32 v6, v9
	s_delay_alu instid0(VALU_DEP_3)
	v_cvt_u32_f32_e32 v4, v4
.LBB3_9:                                ; =>This Inner Loop Header: Depth=1
	s_mul_hi_i32 s13, s18, s7
	s_mul_i32 s4, s18, s7
	s_cmp_lg_u64 s[12:13], 0
	s_mov_b32 s5, -1
                                        ; implicit-def: $sgpr0_sgpr1
	s_cbranch_scc0 .LBB3_11
; %bb.10:                               ;   in Loop: Header=BB3_9 Depth=1
	v_readfirstlane_b32 s0, v4
	v_readfirstlane_b32 s1, v5
	s_sub_u32 s5, 0, s20
	s_subb_u32 s19, 0, 0
	s_delay_alu instid0(VALU_DEP_2) | instskip(NEXT) | instid1(VALU_DEP_1)
	s_mul_hi_u32 s21, s5, s0
	s_mul_i32 s22, s5, s1
	s_mul_i32 s23, s19, s0
	s_add_i32 s21, s21, s22
	s_mul_i32 s22, s5, s0
	s_add_i32 s21, s21, s23
	s_mul_hi_u32 s23, s0, s22
	s_mul_i32 s24, s0, s21
	s_mul_hi_u32 s0, s0, s21
	s_add_u32 s23, s23, s24
	s_mul_i32 s25, s1, s22
	s_addc_u32 s0, 0, s0
	s_mul_hi_u32 s22, s1, s22
	s_mul_hi_u32 s24, s1, s21
	s_add_u32 s23, s23, s25
	s_addc_u32 s0, s0, s22
	s_mul_i32 s21, s1, s21
	s_addc_u32 s22, s24, 0
	s_add_u32 s0, s0, s21
	s_addc_u32 s21, 0, s22
	v_add_co_u32 v9, s0, v4, s0
	s_delay_alu instid0(VALU_DEP_1) | instskip(SKIP_1) | instid1(VALU_DEP_1)
	s_cmp_lg_u32 s0, 0
	s_addc_u32 s1, s1, s21
	v_readfirstlane_b32 s0, v9
	s_mul_i32 s21, s5, s1
	s_delay_alu instid0(VALU_DEP_1)
	s_mul_hi_u32 s22, s5, s0
	s_mul_i32 s19, s19, s0
	s_add_i32 s21, s22, s21
	s_mul_i32 s5, s5, s0
	s_add_i32 s21, s21, s19
	s_mul_hi_u32 s19, s1, s5
	s_mul_i32 s23, s1, s5
	s_mul_i32 s24, s0, s21
	s_mul_hi_u32 s5, s0, s5
	s_mul_hi_u32 s0, s0, s21
	s_add_u32 s5, s5, s24
	s_addc_u32 s0, 0, s0
	s_mul_hi_u32 s22, s1, s21
	s_add_u32 s5, s5, s23
	s_addc_u32 s0, s0, s19
	s_mul_i32 s5, s1, s21
	s_addc_u32 s19, s22, 0
	s_add_u32 s0, s0, s5
	s_addc_u32 s5, 0, s19
	v_add_co_u32 v9, s0, v9, s0
	s_delay_alu instid0(VALU_DEP_1) | instskip(SKIP_2) | instid1(SALU_CYCLE_1)
	s_cmp_lg_u32 s0, 0
	s_addc_u32 s5, s1, s5
	s_ashr_i32 s0, s13, 31
	s_add_u32 s22, s4, s0
	s_addc_u32 s23, s13, s0
	v_readfirstlane_b32 s13, v9
	s_mov_b32 s1, s0
	s_delay_alu instid0(SALU_CYCLE_1) | instskip(NEXT) | instid1(SALU_CYCLE_1)
	s_xor_b64 s[22:23], s[22:23], s[0:1]
	s_mul_i32 s19, s22, s5
	s_delay_alu instid0(VALU_DEP_1)
	s_mul_hi_u32 s21, s22, s13
	s_mul_hi_u32 s24, s22, s5
	s_add_u32 s19, s21, s19
	s_mul_i32 s25, s23, s13
	s_addc_u32 s21, 0, s24
	s_mul_hi_u32 s13, s23, s13
	s_mul_hi_u32 s24, s23, s5
	s_add_u32 s19, s19, s25
	s_addc_u32 s13, s21, s13
	s_mul_i32 s5, s23, s5
	s_addc_u32 s19, s24, 0
	s_add_u32 s5, s13, s5
	s_addc_u32 s13, 0, s19
	s_mul_i32 s21, s20, s5
	s_add_u32 s19, s5, 1
	v_sub_co_u32 v9, s21, s22, s21
	s_addc_u32 s22, s13, 0
	s_mul_i32 s25, s20, s13
	s_mul_hi_u32 s27, s20, s5
	s_delay_alu instid0(VALU_DEP_1)
	v_sub_co_u32 v10, s26, v9, s20
	s_add_u32 s24, s5, 2
	s_addc_u32 s28, s13, 0
	s_add_i32 s27, s27, s25
	s_cmp_lg_u32 s21, 0
	v_readfirstlane_b32 s21, v10
	s_subb_u32 s23, s23, s27
	s_cmp_lg_u32 s26, 0
	s_subb_u32 s25, s23, 0
	s_delay_alu instid0(VALU_DEP_1) | instskip(SKIP_4) | instid1(SALU_CYCLE_1)
	s_cmp_ge_u32 s21, s20
	s_cselect_b32 s21, -1, 0
	s_cmp_eq_u32 s25, 0
	v_readfirstlane_b32 s25, v9
	s_cselect_b32 s21, s21, -1
	s_cmp_lg_u32 s21, 0
	s_cselect_b32 s19, s24, s19
	s_cselect_b32 s21, s28, s22
	s_cmp_ge_u32 s25, s20
	s_cselect_b32 s22, -1, 0
	s_cmp_eq_u32 s23, 0
	s_cselect_b32 s22, s22, -1
	s_delay_alu instid0(SALU_CYCLE_1) | instskip(SKIP_4) | instid1(SALU_CYCLE_1)
	s_cmp_lg_u32 s22, 0
	s_cselect_b32 s23, s21, s13
	s_cselect_b32 s22, s19, s5
	s_mov_b32 s5, 0
	s_xor_b64 s[22:23], s[22:23], s[0:1]
	s_sub_u32 s0, s22, s0
.LBB3_11:                               ;   in Loop: Header=BB3_9 Depth=1
	s_and_not1_b32 vcc_lo, exec_lo, s5
	s_cbranch_vccnz .LBB3_13
; %bb.12:                               ;   in Loop: Header=BB3_9 Depth=1
	v_readfirstlane_b32 s0, v6
	s_delay_alu instid0(VALU_DEP_1) | instskip(NEXT) | instid1(SALU_CYCLE_1)
	s_mul_i32 s1, s17, s0
	s_mul_hi_u32 s1, s0, s1
	s_delay_alu instid0(SALU_CYCLE_1) | instskip(NEXT) | instid1(SALU_CYCLE_1)
	s_add_i32 s0, s0, s1
	s_mul_hi_u32 s0, s4, s0
	s_delay_alu instid0(SALU_CYCLE_1) | instskip(NEXT) | instid1(SALU_CYCLE_1)
	s_mul_i32 s1, s0, s20
	s_sub_i32 s1, s4, s1
	s_add_i32 s4, s0, 1
	s_sub_i32 s5, s1, s20
	s_cmp_ge_u32 s1, s20
	s_cselect_b32 s0, s4, s0
	s_cselect_b32 s1, s5, s1
	s_add_i32 s4, s0, 1
	s_cmp_ge_u32 s1, s20
	s_cselect_b32 s0, s4, s0
.LBB3_13:                               ;   in Loop: Header=BB3_9 Depth=1
	s_delay_alu instid0(SALU_CYCLE_1)
	s_cmp_lg_u32 s16, s0
	s_cbranch_scc0 .LBB3_17
; %bb.14:                               ;   in Loop: Header=BB3_9 Depth=1
	s_add_i32 s21, s18, s14
	s_mov_b32 s5, s12
	s_add_i32 s4, s21, s20
	s_mul_hi_u32 s1, s0, s8
	s_lshl_b64 s[4:5], s[4:5], 3
	s_mov_b32 s19, s16
	s_add_u32 s4, s2, s4
	s_addc_u32 s5, s3, s5
	s_add_i32 s1, s1, s0
	s_delay_alu instid0(SALU_CYCLE_1) | instskip(NEXT) | instid1(SALU_CYCLE_1)
	s_lshr_b32 s1, s1, s9
	s_mul_i32 s13, s1, s10
	s_delay_alu instid0(SALU_CYCLE_1) | instskip(SKIP_3) | instid1(SALU_CYCLE_1)
	s_cmp_eq_u32 s13, s0
	s_cselect_b32 s13, -1, 0
	s_cmp_lt_u32 s1, s11
	s_cselect_b32 s1, -1, 0
	s_or_b32 s1, s1, s13
	s_mov_b32 s13, -1
	s_and_b32 vcc_lo, exec_lo, s1
	s_mov_b32 s1, s18
	s_cbranch_vccnz .LBB3_16
; %bb.15:                               ;   in Loop: Header=BB3_9 Depth=1
	s_add_i32 s1, s18, -1
	s_mov_b32 s13, 0
	s_mov_b32 s19, s0
.LBB3_16:                               ;   in Loop: Header=BB3_9 Depth=1
	v_lshl_or_b32 v9, s21, 6, v0
	s_load_b64 s[4:5], s[4:5], 0x0
	s_delay_alu instid0(VALU_DEP_1) | instskip(NEXT) | instid1(VALU_DEP_1)
	v_ashrrev_i32_e32 v10, 31, v9
	v_lshlrev_b64 v[9:10], 2, v[9:10]
	s_delay_alu instid0(VALU_DEP_1) | instskip(NEXT) | instid1(VALU_DEP_2)
	v_add_co_u32 v9, vcc_lo, s6, v9
	v_add_co_ci_u32_e32 v10, vcc_lo, s15, v10, vcc_lo
	s_waitcnt lgkmcnt(0)
	v_max_f32_e64 v11, s4, s4
	global_load_b32 v10, v[9:10], off
	v_max_f32_e32 v9, v8, v8
	s_delay_alu instid0(VALU_DEP_1) | instskip(NEXT) | instid1(VALU_DEP_1)
	v_max_f32_e32 v9, v9, v11
	v_sub_f32_e32 v12, v8, v9
	s_delay_alu instid0(VALU_DEP_1) | instskip(NEXT) | instid1(VALU_DEP_1)
	v_dual_mul_f32 v14, 0x3fb8aa3b, v12 :: v_dual_sub_f32 v11, s4, v9
	v_rndne_f32_e32 v18, v14
	s_delay_alu instid0(VALU_DEP_2) | instskip(SKIP_2) | instid1(VALU_DEP_4)
	v_mul_f32_e32 v13, 0x3fb8aa3b, v11
	v_fma_f32 v17, 0x3fb8aa3b, v12, -v14
	v_cmp_ngt_f32_e32 vcc_lo, 0xc2ce8ed0, v11
	v_sub_f32_e32 v14, v14, v18
	s_delay_alu instid0(VALU_DEP_4) | instskip(SKIP_2) | instid1(VALU_DEP_3)
	v_fma_f32 v15, 0x3fb8aa3b, v11, -v13
	v_rndne_f32_e32 v16, v13
	v_fmac_f32_e32 v17, 0x32a5705f, v12
	v_fmac_f32_e32 v15, 0x32a5705f, v11
	s_delay_alu instid0(VALU_DEP_2) | instskip(NEXT) | instid1(VALU_DEP_1)
	v_dual_sub_f32 v13, v13, v16 :: v_dual_add_f32 v14, v14, v17
	v_add_f32_e32 v13, v13, v15
	s_delay_alu instid0(VALU_DEP_2) | instskip(SKIP_2) | instid1(VALU_DEP_3)
	v_exp_f32_e32 v14, v14
	v_cvt_i32_f32_e32 v15, v16
	v_cvt_i32_f32_e32 v16, v18
	v_exp_f32_e32 v13, v13
	s_waitcnt_depctr 0xfff
	v_ldexp_f32 v14, v14, v16
	v_ldexp_f32 v13, v13, v15
	s_delay_alu instid0(VALU_DEP_1) | instskip(SKIP_1) | instid1(VALU_DEP_4)
	v_cndmask_b32_e32 v13, 0, v13, vcc_lo
	v_cmp_ngt_f32_e32 vcc_lo, 0xc2ce8ed0, v12
	v_cndmask_b32_e32 v14, 0, v14, vcc_lo
	v_cmp_nlt_f32_e32 vcc_lo, 0x42b17218, v11
	s_delay_alu instid0(VALU_DEP_4) | instskip(SKIP_1) | instid1(VALU_DEP_4)
	v_cndmask_b32_e32 v13, 0x7f800000, v13, vcc_lo
	v_cmp_nlt_f32_e32 vcc_lo, 0x42b17218, v12
	v_cndmask_b32_e32 v14, 0x7f800000, v14, vcc_lo
	v_cmp_le_f32_e32 vcc_lo, 0xc1a00000, v11
	s_delay_alu instid0(VALU_DEP_4) | instskip(SKIP_1) | instid1(VALU_DEP_4)
	v_cndmask_b32_e32 v11, 0, v13, vcc_lo
	v_cmp_le_f32_e32 vcc_lo, 0xc1a00000, v12
	v_cndmask_b32_e32 v12, 0, v14, vcc_lo
	s_waitcnt vmcnt(0)
	s_delay_alu instid0(VALU_DEP_3) | instskip(NEXT) | instid1(VALU_DEP_1)
	v_mul_f32_e32 v10, v10, v11
	v_dual_mul_f32 v11, s5, v11 :: v_dual_fmac_f32 v10, v3, v12
	s_delay_alu instid0(VALU_DEP_1)
	v_fmac_f32_e32 v11, v7, v12
	s_cbranch_execz .LBB3_18
	s_branch .LBB3_19
.LBB3_17:                               ;   in Loop: Header=BB3_9 Depth=1
                                        ; implicit-def: $sgpr13
                                        ; implicit-def: $vgpr10
                                        ; implicit-def: $vgpr9
                                        ; implicit-def: $vgpr11
                                        ; implicit-def: $sgpr1
                                        ; implicit-def: $sgpr19
.LBB3_18:                               ;   in Loop: Header=BB3_9 Depth=1
	v_mov_b32_e32 v11, v7
	s_waitcnt vmcnt(0)
	v_dual_mov_b32 v9, v8 :: v_dual_mov_b32 v10, v3
	s_add_i32 s1, s18, -1
	s_mov_b32 s13, 0
	s_mov_b32 s19, s16
.LBB3_19:                               ;   in Loop: Header=BB3_9 Depth=1
	s_and_not1_b32 vcc_lo, exec_lo, s13
	s_cbranch_vccz .LBB3_23
; %bb.20:                               ;   in Loop: Header=BB3_9 Depth=1
	v_dual_mov_b32 v7, v11 :: v_dual_mov_b32 v8, v9
	s_waitcnt vmcnt(0)
	v_mov_b32_e32 v3, v10
	s_mov_b32 s16, s19
	s_mov_b32 s18, s1
	s_branch .LBB3_9
.LBB3_21:
                                        ; implicit-def: $sgpr16_sgpr17
	s_load_b128 s[8:11], s[0:1], 0x44
	s_branch .LBB3_2
.LBB3_22:
                                        ; implicit-def: $sgpr18_sgpr19
	s_branch .LBB3_5
.LBB3_23:
	v_div_scale_f32 v0, null, v11, v11, v10
	s_waitcnt vmcnt(0)
	s_delay_alu instid0(VALU_DEP_1) | instskip(SKIP_2) | instid1(VALU_DEP_1)
	v_rcp_f32_e32 v3, v0
	s_waitcnt_depctr 0xfff
	v_fma_f32 v4, -v0, v3, 1.0
	v_fmac_f32_e32 v3, v4, v3
	v_div_scale_f32 v4, vcc_lo, v10, v11, v10
	s_delay_alu instid0(VALU_DEP_1) | instskip(NEXT) | instid1(VALU_DEP_1)
	v_mul_f32_e32 v5, v4, v3
	v_fma_f32 v6, -v0, v5, v4
	s_delay_alu instid0(VALU_DEP_1) | instskip(NEXT) | instid1(VALU_DEP_1)
	v_fmac_f32_e32 v5, v6, v3
	v_fma_f32 v0, -v0, v5, v4
	s_delay_alu instid0(VALU_DEP_1) | instskip(NEXT) | instid1(VALU_DEP_1)
	v_div_fmas_f32 v0, v0, v3, v5
	v_div_fixup_f32 v0, v0, v11, v10
	global_store_b32 v[1:2], v0, off
.LBB3_24:
	s_nop 0
	s_sendmsg sendmsg(MSG_DEALLOC_VGPRS)
	s_endpgm
	.section	.rodata,"a",@progbits
	.p2align	6, 0x0
	.amdhsa_kernel _ZL33flash_attn_stream_k_fixup_generalILi64ELi1ELi1EEvPfPK15HIP_vector_typeIfLj2EEiiiiS1_IjLj3EES5_S5_S5_
		.amdhsa_group_segment_fixed_size 0
		.amdhsa_private_segment_fixed_size 0
		.amdhsa_kernarg_size 336
		.amdhsa_user_sgpr_count 13
		.amdhsa_user_sgpr_dispatch_ptr 0
		.amdhsa_user_sgpr_queue_ptr 0
		.amdhsa_user_sgpr_kernarg_segment_ptr 1
		.amdhsa_user_sgpr_dispatch_id 0
		.amdhsa_user_sgpr_private_segment_size 0
		.amdhsa_wavefront_size32 1
		.amdhsa_uses_dynamic_stack 0
		.amdhsa_enable_private_segment 0
		.amdhsa_system_sgpr_workgroup_id_x 1
		.amdhsa_system_sgpr_workgroup_id_y 1
		.amdhsa_system_sgpr_workgroup_id_z 1
		.amdhsa_system_sgpr_workgroup_info 0
		.amdhsa_system_vgpr_workitem_id 0
		.amdhsa_next_free_vgpr 19
		.amdhsa_next_free_sgpr 32
		.amdhsa_reserve_vcc 1
		.amdhsa_float_round_mode_32 0
		.amdhsa_float_round_mode_16_64 0
		.amdhsa_float_denorm_mode_32 3
		.amdhsa_float_denorm_mode_16_64 3
		.amdhsa_dx10_clamp 1
		.amdhsa_ieee_mode 1
		.amdhsa_fp16_overflow 0
		.amdhsa_workgroup_processor_mode 1
		.amdhsa_memory_ordered 1
		.amdhsa_forward_progress 0
		.amdhsa_shared_vgpr_count 0
		.amdhsa_exception_fp_ieee_invalid_op 0
		.amdhsa_exception_fp_denorm_src 0
		.amdhsa_exception_fp_ieee_div_zero 0
		.amdhsa_exception_fp_ieee_overflow 0
		.amdhsa_exception_fp_ieee_underflow 0
		.amdhsa_exception_fp_ieee_inexact 0
		.amdhsa_exception_int_div_zero 0
	.end_amdhsa_kernel
	.section	.text._ZL33flash_attn_stream_k_fixup_generalILi64ELi1ELi1EEvPfPK15HIP_vector_typeIfLj2EEiiiiS1_IjLj3EES5_S5_S5_,"axG",@progbits,_ZL33flash_attn_stream_k_fixup_generalILi64ELi1ELi1EEvPfPK15HIP_vector_typeIfLj2EEiiiiS1_IjLj3EES5_S5_S5_,comdat
.Lfunc_end3:
	.size	_ZL33flash_attn_stream_k_fixup_generalILi64ELi1ELi1EEvPfPK15HIP_vector_typeIfLj2EEiiiiS1_IjLj3EES5_S5_S5_, .Lfunc_end3-_ZL33flash_attn_stream_k_fixup_generalILi64ELi1ELi1EEvPfPK15HIP_vector_typeIfLj2EEiiiiS1_IjLj3EES5_S5_S5_
                                        ; -- End function
	.section	.AMDGPU.csdata,"",@progbits
; Kernel info:
; codeLenInByte = 3168
; NumSgprs: 34
; NumVgprs: 19
; ScratchSize: 0
; MemoryBound: 0
; FloatMode: 240
; IeeeMode: 1
; LDSByteSize: 0 bytes/workgroup (compile time only)
; SGPRBlocks: 4
; VGPRBlocks: 2
; NumSGPRsForWavesPerEU: 34
; NumVGPRsForWavesPerEU: 19
; Occupancy: 16
; WaveLimiterHint : 0
; COMPUTE_PGM_RSRC2:SCRATCH_EN: 0
; COMPUTE_PGM_RSRC2:USER_SGPR: 13
; COMPUTE_PGM_RSRC2:TRAP_HANDLER: 0
; COMPUTE_PGM_RSRC2:TGID_X_EN: 1
; COMPUTE_PGM_RSRC2:TGID_Y_EN: 1
; COMPUTE_PGM_RSRC2:TGID_Z_EN: 1
; COMPUTE_PGM_RSRC2:TIDIG_COMP_CNT: 0
	.section	.text._ZL26flash_attn_combine_resultsILi64EEvPKfPK15HIP_vector_typeIfLj2EEPfi,"axG",@progbits,_ZL26flash_attn_combine_resultsILi64EEvPKfPK15HIP_vector_typeIfLj2EEPfi,comdat
	.globl	_ZL26flash_attn_combine_resultsILi64EEvPKfPK15HIP_vector_typeIfLj2EEPfi ; -- Begin function _ZL26flash_attn_combine_resultsILi64EEvPKfPK15HIP_vector_typeIfLj2EEPfi
	.p2align	8
	.type	_ZL26flash_attn_combine_resultsILi64EEvPKfPK15HIP_vector_typeIfLj2EEPfi,@function
_ZL26flash_attn_combine_resultsILi64EEvPKfPK15HIP_vector_typeIfLj2EEPfi: ; @_ZL26flash_attn_combine_resultsILi64EEvPKfPK15HIP_vector_typeIfLj2EEPfi
; %bb.0:
	s_clause 0x3
	s_load_b64 s[2:3], s[0:1], 0x20
	s_load_b32 s11, s[0:1], 0x18
	s_load_b128 s[4:7], s[0:1], 0x0
	s_load_b64 s[8:9], s[0:1], 0x10
	v_lshlrev_b32_e32 v5, 2, v0
	s_mov_b32 s12, exec_lo
	s_waitcnt lgkmcnt(0)
	s_mul_i32 s0, s2, s15
	s_lshl_b32 s1, s11, 1
	s_add_i32 s0, s0, s13
	s_delay_alu instid0(SALU_CYCLE_1) | instskip(NEXT) | instid1(SALU_CYCLE_1)
	s_mul_i32 s10, s0, s3
	s_add_i32 s10, s10, s14
	s_delay_alu instid0(SALU_CYCLE_1)
	s_mul_i32 s2, s10, s11
	v_cmpx_gt_i32_e64 s1, v0
	s_cbranch_execz .LBB4_3
; %bb.1:
	s_ashr_i32 s3, s2, 31
	v_dual_mov_b32 v4, v0 :: v_dual_add_nc_u32 v3, 0, v5
	s_lshl_b64 s[14:15], s[2:3], 3
	s_delay_alu instid0(SALU_CYCLE_1) | instskip(SKIP_2) | instid1(VALU_DEP_1)
	s_add_u32 s0, s6, s14
	s_addc_u32 s3, s7, s15
	v_add_co_u32 v1, s0, s0, v5
	v_add_co_ci_u32_e64 v2, null, s3, 0, s0
	s_mov_b32 s3, 0
.LBB4_2:                                ; =>This Inner Loop Header: Depth=1
	global_load_b32 v6, v[1:2], off
	v_add_nc_u32_e32 v4, 64, v4
	v_add_co_u32 v1, vcc_lo, 0x100, v1
	v_add_co_ci_u32_e32 v2, vcc_lo, 0, v2, vcc_lo
	s_delay_alu instid0(VALU_DEP_3) | instskip(NEXT) | instid1(VALU_DEP_1)
	v_cmp_le_i32_e64 s0, s1, v4
	s_or_b32 s3, s0, s3
	s_waitcnt vmcnt(0)
	ds_store_b32 v3, v6
	v_add_nc_u32_e32 v3, 0x100, v3
	s_and_not1_b32 exec_lo, exec_lo, s3
	s_cbranch_execnz .LBB4_2
.LBB4_3:
	s_or_b32 exec_lo, exec_lo, s12
	v_mov_b32_e32 v1, 0
	s_waitcnt lgkmcnt(0)
	s_barrier
	buffer_gl0_inv
	s_cmp_lt_i32 s11, 2
	ds_load_b32 v6, v1
	s_cbranch_scc1 .LBB4_11
; %bb.4:
	s_add_i32 s1, s11, -2
	s_add_i32 s0, s11, -1
	s_cmp_lt_u32 s1, 7
	s_cbranch_scc1 .LBB4_8
; %bb.5:
	s_mov_b32 s3, 0
	s_add_i32 s1, 0, 8
	s_and_b32 s6, s0, -8
	.p2align	6
.LBB4_6:                                ; =>This Inner Loop Header: Depth=1
	v_mov_b32_e32 v9, s1
	s_mov_b32 s7, s3
	s_add_i32 s3, s3, 8
	s_add_i32 s1, s1, 64
	s_cmp_eq_u32 s6, s3
	ds_load_2addr_b32 v[1:2], v9 offset1:2
	ds_load_2addr_b32 v[3:4], v9 offset0:4 offset1:6
	ds_load_2addr_b32 v[7:8], v9 offset0:8 offset1:10
	;; [unrolled: 1-line block ×3, first 2 shown]
	s_waitcnt lgkmcnt(3)
	v_max3_f32 v1, v6, v1, v2
	s_waitcnt lgkmcnt(2)
	s_delay_alu instid0(VALU_DEP_1) | instskip(SKIP_1) | instid1(VALU_DEP_1)
	v_max3_f32 v1, v1, v3, v4
	s_waitcnt lgkmcnt(1)
	v_max3_f32 v1, v1, v7, v8
	s_waitcnt lgkmcnt(0)
	s_delay_alu instid0(VALU_DEP_1)
	v_max3_f32 v6, v1, v9, v10
	s_cbranch_scc0 .LBB4_6
; %bb.7:
	s_add_i32 s1, s7, 9
	s_and_b32 s0, s0, 7
	s_delay_alu instid0(SALU_CYCLE_1)
	s_cmp_eq_u32 s0, 0
	s_cbranch_scc0 .LBB4_9
	s_branch .LBB4_11
.LBB4_8:
	s_mov_b32 s1, 1
	s_and_b32 s0, s0, 7
	s_delay_alu instid0(SALU_CYCLE_1)
	s_cmp_eq_u32 s0, 0
	s_cbranch_scc1 .LBB4_11
.LBB4_9:
	s_lshl_b32 s1, s1, 3
	s_delay_alu instid0(SALU_CYCLE_1)
	s_add_i32 s1, s1, 0
.LBB4_10:                               ; =>This Inner Loop Header: Depth=1
	s_waitcnt lgkmcnt(0)
	s_delay_alu instid0(VALU_DEP_1)
	v_dual_mov_b32 v1, s1 :: v_dual_max_f32 v2, v6, v6
	s_add_i32 s0, s0, -1
	s_add_i32 s1, s1, 8
	s_cmp_lg_u32 s0, 0
	ds_load_b32 v1, v1
	s_waitcnt lgkmcnt(0)
	v_max_f32_e32 v1, v1, v1
	s_delay_alu instid0(VALU_DEP_1)
	v_max_f32_e32 v6, v2, v1
	s_cbranch_scc1 .LBB4_10
.LBB4_11:
	s_cmp_lt_i32 s11, 1
	s_cbranch_scc1 .LBB4_16
; %bb.12:
	s_lshl_b32 s0, s2, 6
	v_mov_b32_e32 v7, 0
	s_ashr_i32 s1, s0, 31
	s_mov_b32 s13, 0
	s_lshl_b64 s[0:1], s[0:1], 2
	s_delay_alu instid0(SALU_CYCLE_1)
	s_add_u32 s6, s4, s0
	s_addc_u32 s7, s5, s1
	s_cmp_lt_u32 s11, 8
	s_cbranch_scc1 .LBB4_17
; %bb.13:
	v_or_b32_e32 v1, 0x1c0, v0
	v_dual_mov_b32 v4, 0 :: v_dual_mov_b32 v7, 0
	v_mov_b32_e32 v8, 0
	s_and_b32 s12, s11, 0x7ffffff8
	s_mov_b32 s14, 0
.LBB4_14:                               ; =>This Inner Loop Header: Depth=1
	s_delay_alu instid0(VALU_DEP_2) | instskip(SKIP_3) | instid1(VALU_DEP_2)
	v_dual_mov_b32 v2, v4 :: v_dual_add_nc_u32 v3, 0xfffffe40, v1
	v_mov_b32_e32 v21, s13
	s_add_i32 s14, s14, 8
	s_add_i32 s13, s13, 64
	v_lshlrev_b64 v[9:10], 2, v[3:4]
	v_add_nc_u32_e32 v3, 0xfffffe80, v1
	v_lshlrev_b64 v[11:12], 2, v[1:2]
	s_cmp_eq_u32 s12, s14
	s_delay_alu instid0(VALU_DEP_2) | instskip(NEXT) | instid1(VALU_DEP_4)
	v_lshlrev_b64 v[13:14], 2, v[3:4]
	v_add_co_u32 v9, vcc_lo, s6, v9
	v_add_co_ci_u32_e32 v10, vcc_lo, s7, v10, vcc_lo
	v_add_nc_u32_e32 v3, 0xfffffec0, v1
	s_delay_alu instid0(VALU_DEP_4)
	v_add_co_u32 v13, vcc_lo, s6, v13
	global_load_b32 v25, v[9:10], off
	v_add_co_ci_u32_e32 v14, vcc_lo, s7, v14, vcc_lo
	v_lshlrev_b64 v[15:16], 2, v[3:4]
	v_add_nc_u32_e32 v3, 0xffffff00, v1
	global_load_b32 v26, v[13:14], off
	v_lshlrev_b64 v[9:10], 2, v[3:4]
	v_add_nc_u32_e32 v3, 0xffffff40, v1
	v_add_co_u32 v13, vcc_lo, s6, v15
	v_add_co_ci_u32_e32 v14, vcc_lo, s7, v16, vcc_lo
	s_delay_alu instid0(VALU_DEP_4) | instskip(NEXT) | instid1(VALU_DEP_4)
	v_add_co_u32 v9, vcc_lo, s6, v9
	v_lshlrev_b64 v[15:16], 2, v[3:4]
	v_add_nc_u32_e32 v3, 0xffffff80, v1
	v_add_co_ci_u32_e32 v10, vcc_lo, s7, v10, vcc_lo
	s_clause 0x1
	global_load_b32 v27, v[13:14], off
	global_load_b32 v28, v[9:10], off
	v_lshlrev_b64 v[13:14], 2, v[3:4]
	v_subrev_nc_u32_e32 v3, 64, v1
	v_add_co_u32 v9, vcc_lo, s6, v15
	v_add_co_ci_u32_e32 v10, vcc_lo, s7, v16, vcc_lo
	s_delay_alu instid0(VALU_DEP_4) | instskip(NEXT) | instid1(VALU_DEP_4)
	v_add_co_u32 v13, vcc_lo, s6, v13
	v_lshlrev_b64 v[2:3], 2, v[3:4]
	v_add_co_ci_u32_e32 v14, vcc_lo, s7, v14, vcc_lo
	s_clause 0x1
	global_load_b32 v29, v[9:10], off
	global_load_b32 v30, v[13:14], off
	v_add_co_u32 v2, vcc_lo, s6, v2
	v_add_co_ci_u32_e32 v3, vcc_lo, s7, v3, vcc_lo
	v_add_co_u32 v9, vcc_lo, s6, v11
	v_add_co_ci_u32_e32 v10, vcc_lo, s7, v12, vcc_lo
	s_clause 0x1
	global_load_b32 v2, v[2:3], off
	global_load_b32 v3, v[9:10], off
	ds_load_2addr_b64 v[9:12], v21 offset1:1
	ds_load_2addr_b64 v[13:16], v21 offset0:2 offset1:3
	ds_load_2addr_b64 v[17:20], v21 offset0:4 offset1:5
	;; [unrolled: 1-line block ×3, first 2 shown]
	v_add_nc_u32_e32 v1, 0x200, v1
	s_waitcnt lgkmcnt(1)
	v_sub_f32_e32 v19, v19, v6
	v_sub_f32_e32 v11, v11, v6
	s_waitcnt lgkmcnt(0)
	v_sub_f32_e32 v23, v23, v6
	s_delay_alu instid0(VALU_DEP_3) | instskip(NEXT) | instid1(VALU_DEP_3)
	v_dual_sub_f32 v13, v13, v6 :: v_dual_mul_f32 v36, 0x3fb8aa3b, v19
	v_mul_f32_e32 v32, 0x3fb8aa3b, v11
	s_delay_alu instid0(VALU_DEP_2) | instskip(SKIP_1) | instid1(VALU_DEP_4)
	v_dual_mul_f32 v38, 0x3fb8aa3b, v23 :: v_dual_mul_f32 v33, 0x3fb8aa3b, v13
	v_cmp_ngt_f32_e32 vcc_lo, 0xc2ce8ed0, v13
	v_fma_f32 v49, 0x3fb8aa3b, v19, -v36
	s_delay_alu instid0(VALU_DEP_4) | instskip(SKIP_4) | instid1(VALU_DEP_4)
	v_fma_f32 v41, 0x3fb8aa3b, v11, -v32
	v_rndne_f32_e32 v42, v32
	v_fma_f32 v43, 0x3fb8aa3b, v13, -v33
	v_rndne_f32_e32 v44, v33
	v_rndne_f32_e32 v54, v38
	v_dual_fmac_f32 v41, 0x32a5705f, v11 :: v_dual_sub_f32 v32, v32, v42
	v_sub_f32_e32 v15, v15, v6
	v_fmac_f32_e32 v43, 0x32a5705f, v13
	v_sub_f32_e32 v33, v33, v44
	v_cvt_i32_f32_e32 v42, v42
	v_dual_add_f32 v32, v32, v41 :: v_dual_sub_f32 v9, v9, v6
	v_mul_f32_e32 v34, 0x3fb8aa3b, v15
	s_delay_alu instid0(VALU_DEP_4) | instskip(SKIP_1) | instid1(VALU_DEP_4)
	v_add_f32_e32 v33, v33, v43
	v_cvt_i32_f32_e32 v44, v44
	v_exp_f32_e32 v32, v32
	v_mul_f32_e32 v31, 0x3fb8aa3b, v9
	v_fma_f32 v45, 0x3fb8aa3b, v15, -v34
	v_rndne_f32_e32 v46, v34
	v_exp_f32_e32 v33, v33
	v_cmp_ngt_f32_e64 s5, 0xc2ce8ed0, v9
	v_fma_f32 v39, 0x3fb8aa3b, v9, -v31
	v_rndne_f32_e32 v40, v31
	v_dual_fmac_f32 v45, 0x32a5705f, v15 :: v_dual_sub_f32 v34, v34, v46
	v_sub_f32_e32 v17, v17, v6
	s_delay_alu instid0(VALU_DEP_4) | instskip(NEXT) | instid1(VALU_DEP_4)
	v_fmac_f32_e32 v39, 0x32a5705f, v9
	v_sub_f32_e32 v31, v31, v40
	v_cvt_i32_f32_e32 v40, v40
	v_add_f32_e32 v34, v34, v45
	v_ldexp_f32 v32, v32, v42
	v_ldexp_f32 v33, v33, v44
	v_add_f32_e32 v31, v31, v39
	v_cvt_i32_f32_e32 v46, v46
	v_exp_f32_e32 v34, v34
	v_cmp_ngt_f32_e64 s0, 0xc2ce8ed0, v15
	v_cmp_ngt_f32_e64 s1, 0xc2ce8ed0, v17
	v_exp_f32_e32 v31, v31
	v_rndne_f32_e32 v50, v36
	s_delay_alu instid0(VALU_DEP_1)
	v_dual_fmac_f32 v49, 0x32a5705f, v19 :: v_dual_sub_f32 v36, v36, v50
	s_waitcnt_depctr 0xfff
	v_ldexp_f32 v34, v34, v46
	v_cvt_i32_f32_e32 v50, v50
	v_ldexp_f32 v31, v31, v40
	v_add_f32_e32 v36, v36, v49
	v_cmp_ngt_f32_e64 s2, 0xc2ce8ed0, v19
	s_delay_alu instid0(VALU_DEP_3) | instskip(SKIP_1) | instid1(VALU_DEP_4)
	v_cndmask_b32_e64 v31, 0, v31, s5
	v_cmp_ngt_f32_e64 s5, 0xc2ce8ed0, v11
	v_exp_f32_e32 v36, v36
	s_delay_alu instid0(VALU_DEP_1) | instskip(SKIP_1) | instid1(VALU_DEP_1)
	v_cndmask_b32_e64 v32, 0, v32, s5
	v_cmp_nlt_f32_e64 s5, 0x42b17218, v9
	v_cndmask_b32_e64 v9, 0x7f800000, v31, s5
	v_cndmask_b32_e32 v31, 0, v33, vcc_lo
	v_cmp_nlt_f32_e32 vcc_lo, 0x42b17218, v11
	s_waitcnt_depctr 0xfff
	v_ldexp_f32 v36, v36, v50
	v_dual_fmac_f32 v8, v9, v10 :: v_dual_cndmask_b32 v11, 0x7f800000, v32
	v_cmp_nlt_f32_e32 vcc_lo, 0x42b17218, v13
	s_delay_alu instid0(VALU_DEP_2)
	v_fmac_f32_e32 v8, v11, v12
	v_cndmask_b32_e32 v10, 0x7f800000, v31, vcc_lo
	v_cmp_nlt_f32_e32 vcc_lo, 0x42b17218, v15
	v_fma_f32 v53, 0x3fb8aa3b, v23, -v38
	v_sub_f32_e32 v38, v38, v54
	v_cvt_i32_f32_e32 v54, v54
	v_fmac_f32_e32 v8, v10, v14
	v_cmp_ngt_f32_e64 s4, 0xc2ce8ed0, v23
	v_fmac_f32_e32 v53, 0x32a5705f, v23
	s_delay_alu instid0(VALU_DEP_1) | instskip(NEXT) | instid1(VALU_DEP_1)
	v_dual_sub_f32 v21, v21, v6 :: v_dual_add_f32 v38, v38, v53
	v_cmp_ngt_f32_e64 s3, 0xc2ce8ed0, v21
	s_delay_alu instid0(VALU_DEP_2)
	v_exp_f32_e32 v38, v38
	s_waitcnt_depctr 0xfff
	v_ldexp_f32 v38, v38, v54
	s_waitcnt vmcnt(7)
	v_fmac_f32_e32 v7, v25, v9
	v_cndmask_b32_e64 v9, 0, v34, s0
	s_delay_alu instid0(VALU_DEP_1)
	v_cndmask_b32_e32 v9, 0x7f800000, v9, vcc_lo
	v_mul_f32_e32 v35, 0x3fb8aa3b, v17
	s_waitcnt vmcnt(6)
	v_fmac_f32_e32 v7, v26, v11
	v_cmp_nlt_f32_e32 vcc_lo, 0x42b17218, v17
	v_fmac_f32_e32 v8, v9, v16
	v_fma_f32 v47, 0x3fb8aa3b, v17, -v35
	v_rndne_f32_e32 v48, v35
	s_delay_alu instid0(VALU_DEP_2) | instskip(NEXT) | instid1(VALU_DEP_2)
	v_fmac_f32_e32 v47, 0x32a5705f, v17
	v_sub_f32_e32 v35, v35, v48
	v_cvt_i32_f32_e32 v48, v48
	s_waitcnt vmcnt(5)
	v_fmac_f32_e32 v7, v27, v10
	v_cndmask_b32_e64 v10, 0, v36, s2
	v_add_f32_e32 v35, v35, v47
	s_waitcnt vmcnt(4)
	s_delay_alu instid0(VALU_DEP_3) | instskip(NEXT) | instid1(VALU_DEP_2)
	v_fmac_f32_e32 v7, v28, v9
	v_exp_f32_e32 v35, v35
	s_waitcnt_depctr 0xfff
	v_ldexp_f32 v35, v35, v48
	s_delay_alu instid0(VALU_DEP_1) | instskip(NEXT) | instid1(VALU_DEP_1)
	v_cndmask_b32_e64 v11, 0, v35, s1
	v_cndmask_b32_e32 v11, 0x7f800000, v11, vcc_lo
	v_mul_f32_e32 v37, 0x3fb8aa3b, v21
	v_cmp_nlt_f32_e32 vcc_lo, 0x42b17218, v19
	s_delay_alu instid0(VALU_DEP_3) | instskip(NEXT) | instid1(VALU_DEP_3)
	v_fmac_f32_e32 v8, v11, v18
	v_fma_f32 v51, 0x3fb8aa3b, v21, -v37
	v_rndne_f32_e32 v52, v37
	s_waitcnt vmcnt(3)
	v_dual_cndmask_b32 v10, 0x7f800000, v10 :: v_dual_fmac_f32 v7, v29, v11
	v_cmp_nlt_f32_e32 vcc_lo, 0x42b17218, v21
	v_fmac_f32_e32 v51, 0x32a5705f, v21
	v_sub_f32_e32 v37, v37, v52
	v_cvt_i32_f32_e32 v52, v52
	v_cndmask_b32_e64 v11, 0, v38, s4
	v_fmac_f32_e32 v8, v10, v20
	s_waitcnt vmcnt(2)
	v_fmac_f32_e32 v7, v30, v10
	v_add_f32_e32 v37, v37, v51
	s_delay_alu instid0(VALU_DEP_1) | instskip(SKIP_2) | instid1(VALU_DEP_1)
	v_exp_f32_e32 v37, v37
	s_waitcnt_depctr 0xfff
	v_ldexp_f32 v37, v37, v52
	v_cndmask_b32_e64 v9, 0, v37, s3
	s_delay_alu instid0(VALU_DEP_1) | instskip(SKIP_1) | instid1(VALU_DEP_2)
	v_cndmask_b32_e32 v9, 0x7f800000, v9, vcc_lo
	v_cmp_nlt_f32_e32 vcc_lo, 0x42b17218, v23
	v_fmac_f32_e32 v8, v9, v22
	s_waitcnt vmcnt(1)
	v_dual_cndmask_b32 v10, 0x7f800000, v11 :: v_dual_fmac_f32 v7, v2, v9
	s_waitcnt vmcnt(0)
	s_delay_alu instid0(VALU_DEP_1)
	v_dual_fmac_f32 v8, v10, v24 :: v_dual_fmac_f32 v7, v3, v10
	s_cbranch_scc0 .LBB4_14
; %bb.15:
	s_and_b32 s0, s11, 7
	s_delay_alu instid0(SALU_CYCLE_1)
	s_cmp_eq_u32 s0, 0
	s_cbranch_scc0 .LBB4_18
	s_branch .LBB4_20
.LBB4_16:
	v_mov_b32_e32 v0, 0x7fc00000
	s_branch .LBB4_21
.LBB4_17:
	v_mov_b32_e32 v8, 0
	s_mov_b32 s12, 0
	s_and_b32 s0, s11, 7
	s_delay_alu instid0(SALU_CYCLE_1)
	s_cmp_eq_u32 s0, 0
	s_cbranch_scc1 .LBB4_20
.LBB4_18:
	v_lshl_or_b32 v0, s12, 6, v0
	v_mov_b32_e32 v1, 0
	s_lshl_b32 s1, s12, 3
	s_delay_alu instid0(SALU_CYCLE_1)
	s_add_i32 s1, s1, 0
	s_set_inst_prefetch_distance 0x1
	.p2align	6
.LBB4_19:                               ; =>This Inner Loop Header: Depth=1
	s_delay_alu instid0(VALU_DEP_1) | instskip(SKIP_2) | instid1(VALU_DEP_2)
	v_lshlrev_b64 v[2:3], 2, v[0:1]
	s_add_i32 s0, s0, -1
	v_add_nc_u32_e32 v0, 64, v0
	v_add_co_u32 v2, vcc_lo, s6, v2
	s_delay_alu instid0(VALU_DEP_3)
	v_add_co_ci_u32_e32 v3, vcc_lo, s7, v3, vcc_lo
	global_load_b32 v4, v[2:3], off
	v_mov_b32_e32 v2, s1
	s_add_i32 s1, s1, 8
	s_cmp_lg_u32 s0, 0
	ds_load_b64 v[2:3], v2
	s_waitcnt lgkmcnt(0)
	v_sub_f32_e32 v2, v2, v6
	s_delay_alu instid0(VALU_DEP_1) | instskip(SKIP_1) | instid1(VALU_DEP_2)
	v_mul_f32_e32 v9, 0x3fb8aa3b, v2
	v_cmp_ngt_f32_e32 vcc_lo, 0xc2ce8ed0, v2
	v_fma_f32 v10, 0x3fb8aa3b, v2, -v9
	v_rndne_f32_e32 v11, v9
	s_delay_alu instid0(VALU_DEP_1) | instskip(NEXT) | instid1(VALU_DEP_1)
	v_dual_fmac_f32 v10, 0x32a5705f, v2 :: v_dual_sub_f32 v9, v9, v11
	v_add_f32_e32 v9, v9, v10
	v_cvt_i32_f32_e32 v10, v11
	s_delay_alu instid0(VALU_DEP_2) | instskip(SKIP_2) | instid1(VALU_DEP_1)
	v_exp_f32_e32 v9, v9
	s_waitcnt_depctr 0xfff
	v_ldexp_f32 v9, v9, v10
	v_cndmask_b32_e32 v9, 0, v9, vcc_lo
	v_cmp_nlt_f32_e32 vcc_lo, 0x42b17218, v2
	s_delay_alu instid0(VALU_DEP_2) | instskip(SKIP_1) | instid1(VALU_DEP_1)
	v_cndmask_b32_e32 v2, 0x7f800000, v9, vcc_lo
	s_waitcnt vmcnt(0)
	v_dual_fmac_f32 v8, v2, v3 :: v_dual_fmac_f32 v7, v4, v2
	s_cbranch_scc1 .LBB4_19
.LBB4_20:
	s_set_inst_prefetch_distance 0x2
	s_delay_alu instid0(VALU_DEP_1) | instskip(NEXT) | instid1(VALU_DEP_1)
	v_div_scale_f32 v0, null, v8, v8, v7
	v_rcp_f32_e32 v1, v0
	s_waitcnt_depctr 0xfff
	v_fma_f32 v2, -v0, v1, 1.0
	s_delay_alu instid0(VALU_DEP_1) | instskip(SKIP_1) | instid1(VALU_DEP_1)
	v_fmac_f32_e32 v1, v2, v1
	v_div_scale_f32 v2, vcc_lo, v7, v8, v7
	v_mul_f32_e32 v3, v2, v1
	s_delay_alu instid0(VALU_DEP_1) | instskip(NEXT) | instid1(VALU_DEP_1)
	v_fma_f32 v4, -v0, v3, v2
	v_fmac_f32_e32 v3, v4, v1
	s_delay_alu instid0(VALU_DEP_1) | instskip(NEXT) | instid1(VALU_DEP_1)
	v_fma_f32 v0, -v0, v3, v2
	v_div_fmas_f32 v0, v0, v1, v3
	s_delay_alu instid0(VALU_DEP_1)
	v_div_fixup_f32 v0, v0, v8, v7
.LBB4_21:
	s_lshl_b32 s0, s10, 6
	s_delay_alu instid0(SALU_CYCLE_1) | instskip(NEXT) | instid1(SALU_CYCLE_1)
	s_ashr_i32 s1, s0, 31
	s_lshl_b64 s[0:1], s[0:1], 2
	s_delay_alu instid0(SALU_CYCLE_1)
	s_add_u32 s0, s8, s0
	s_addc_u32 s1, s9, s1
	global_store_b32 v5, v0, s[0:1]
	s_nop 0
	s_sendmsg sendmsg(MSG_DEALLOC_VGPRS)
	s_endpgm
	.section	.rodata,"a",@progbits
	.p2align	6, 0x0
	.amdhsa_kernel _ZL26flash_attn_combine_resultsILi64EEvPKfPK15HIP_vector_typeIfLj2EEPfi
		.amdhsa_group_segment_fixed_size 0
		.amdhsa_private_segment_fixed_size 0
		.amdhsa_kernarg_size 288
		.amdhsa_user_sgpr_count 13
		.amdhsa_user_sgpr_dispatch_ptr 0
		.amdhsa_user_sgpr_queue_ptr 0
		.amdhsa_user_sgpr_kernarg_segment_ptr 1
		.amdhsa_user_sgpr_dispatch_id 0
		.amdhsa_user_sgpr_private_segment_size 0
		.amdhsa_wavefront_size32 1
		.amdhsa_uses_dynamic_stack 0
		.amdhsa_enable_private_segment 0
		.amdhsa_system_sgpr_workgroup_id_x 1
		.amdhsa_system_sgpr_workgroup_id_y 1
		.amdhsa_system_sgpr_workgroup_id_z 1
		.amdhsa_system_sgpr_workgroup_info 0
		.amdhsa_system_vgpr_workitem_id 0
		.amdhsa_next_free_vgpr 55
		.amdhsa_next_free_sgpr 16
		.amdhsa_reserve_vcc 1
		.amdhsa_float_round_mode_32 0
		.amdhsa_float_round_mode_16_64 0
		.amdhsa_float_denorm_mode_32 3
		.amdhsa_float_denorm_mode_16_64 3
		.amdhsa_dx10_clamp 1
		.amdhsa_ieee_mode 1
		.amdhsa_fp16_overflow 0
		.amdhsa_workgroup_processor_mode 1
		.amdhsa_memory_ordered 1
		.amdhsa_forward_progress 0
		.amdhsa_shared_vgpr_count 0
		.amdhsa_exception_fp_ieee_invalid_op 0
		.amdhsa_exception_fp_denorm_src 0
		.amdhsa_exception_fp_ieee_div_zero 0
		.amdhsa_exception_fp_ieee_overflow 0
		.amdhsa_exception_fp_ieee_underflow 0
		.amdhsa_exception_fp_ieee_inexact 0
		.amdhsa_exception_int_div_zero 0
	.end_amdhsa_kernel
	.section	.text._ZL26flash_attn_combine_resultsILi64EEvPKfPK15HIP_vector_typeIfLj2EEPfi,"axG",@progbits,_ZL26flash_attn_combine_resultsILi64EEvPKfPK15HIP_vector_typeIfLj2EEPfi,comdat
.Lfunc_end4:
	.size	_ZL26flash_attn_combine_resultsILi64EEvPKfPK15HIP_vector_typeIfLj2EEPfi, .Lfunc_end4-_ZL26flash_attn_combine_resultsILi64EEvPKfPK15HIP_vector_typeIfLj2EEPfi
                                        ; -- End function
	.section	.AMDGPU.csdata,"",@progbits
; Kernel info:
; codeLenInByte = 2344
; NumSgprs: 18
; NumVgprs: 55
; ScratchSize: 0
; MemoryBound: 0
; FloatMode: 240
; IeeeMode: 1
; LDSByteSize: 0 bytes/workgroup (compile time only)
; SGPRBlocks: 2
; VGPRBlocks: 6
; NumSGPRsForWavesPerEU: 18
; NumVGPRsForWavesPerEU: 55
; Occupancy: 16
; WaveLimiterHint : 0
; COMPUTE_PGM_RSRC2:SCRATCH_EN: 0
; COMPUTE_PGM_RSRC2:USER_SGPR: 13
; COMPUTE_PGM_RSRC2:TRAP_HANDLER: 0
; COMPUTE_PGM_RSRC2:TGID_X_EN: 1
; COMPUTE_PGM_RSRC2:TGID_Y_EN: 1
; COMPUTE_PGM_RSRC2:TGID_Z_EN: 1
; COMPUTE_PGM_RSRC2:TIDIG_COMP_CNT: 0
	.text
	.p2align	2                               ; -- Begin function __ockl_printf_append_string_n
	.type	__ockl_printf_append_string_n,@function
__ockl_printf_append_string_n:          ; @__ockl_printf_append_string_n
; %bb.0:
	s_waitcnt vmcnt(0) expcnt(0) lgkmcnt(0)
	v_dual_mov_b32 v7, v3 :: v_dual_mov_b32 v6, v2
	v_mov_b32_e32 v3, v0
	v_mbcnt_lo_u32_b32 v32, -1, 0
	s_mov_b32 s0, exec_lo
	s_delay_alu instid0(VALU_DEP_3)
	v_cmpx_ne_u64_e32 0, v[6:7]
	s_xor_b32 s10, exec_lo, s0
	s_cbranch_execz .LBB5_86
; %bb.1:
	s_load_b64 s[2:3], s[8:9], 0x50
	v_dual_mov_b32 v10, 2 :: v_dual_and_b32 v33, 2, v3
	v_dual_mov_b32 v9, 0 :: v_dual_and_b32 v0, -3, v3
	v_mov_b32_e32 v11, 1
	s_mov_b32 s12, 0
	s_mov_b32 s11, 0
	s_branch .LBB5_3
.LBB5_2:                                ;   in Loop: Header=BB5_3 Depth=1
	s_or_b32 exec_lo, exec_lo, s1
	v_sub_co_u32 v4, vcc_lo, v4, v28
	v_sub_co_ci_u32_e32 v5, vcc_lo, v5, v29, vcc_lo
	v_add_co_u32 v6, s0, v6, v28
	s_delay_alu instid0(VALU_DEP_1) | instskip(NEXT) | instid1(VALU_DEP_3)
	v_add_co_ci_u32_e64 v7, s0, v7, v29, s0
	v_cmp_eq_u64_e32 vcc_lo, 0, v[4:5]
	s_or_b32 s11, vcc_lo, s11
	s_delay_alu instid0(SALU_CYCLE_1)
	s_and_not1_b32 exec_lo, exec_lo, s11
	s_cbranch_execz .LBB5_85
.LBB5_3:                                ; =>This Loop Header: Depth=1
                                        ;     Child Loop BB5_6 Depth 2
                                        ;     Child Loop BB5_14 Depth 2
	;; [unrolled: 1-line block ×11, first 2 shown]
	v_cmp_gt_u64_e32 vcc_lo, 56, v[4:5]
	s_mov_b32 s1, exec_lo
                                        ; implicit-def: $vgpr2_vgpr3
                                        ; implicit-def: $sgpr4
	v_dual_cndmask_b32 v29, 0, v5 :: v_dual_cndmask_b32 v28, 56, v4
	v_cmpx_gt_u64_e32 8, v[4:5]
	s_xor_b32 s1, exec_lo, s1
	s_cbranch_execz .LBB5_9
; %bb.4:                                ;   in Loop: Header=BB5_3 Depth=1
	s_waitcnt vmcnt(0)
	v_mov_b32_e32 v2, 0
	v_mov_b32_e32 v3, 0
	s_mov_b64 s[4:5], 0
	s_mov_b32 s6, exec_lo
	v_cmpx_ne_u64_e32 0, v[4:5]
	s_cbranch_execz .LBB5_8
; %bb.5:                                ;   in Loop: Header=BB5_3 Depth=1
	v_lshlrev_b64 v[12:13], 3, v[28:29]
	v_mov_b32_e32 v2, 0
	v_dual_mov_b32 v3, 0 :: v_dual_mov_b32 v14, v7
	v_mov_b32_e32 v13, v6
	s_mov_b32 s7, 0
	.p2align	6
.LBB5_6:                                ;   Parent Loop BB5_3 Depth=1
                                        ; =>  This Inner Loop Header: Depth=2
	flat_load_u8 v8, v[13:14]
	v_mov_b32_e32 v16, s12
	v_add_co_u32 v13, vcc_lo, v13, 1
	v_add_co_ci_u32_e32 v14, vcc_lo, 0, v14, vcc_lo
	s_waitcnt vmcnt(0) lgkmcnt(0)
	v_and_b32_e32 v15, 0xffff, v8
	s_delay_alu instid0(VALU_DEP_1) | instskip(SKIP_3) | instid1(VALU_DEP_2)
	v_lshlrev_b64 v[15:16], s4, v[15:16]
	s_add_u32 s4, s4, 8
	s_addc_u32 s5, s5, 0
	v_cmp_eq_u32_e64 s0, s4, v12
	v_or_b32_e32 v3, v16, v3
	s_delay_alu instid0(VALU_DEP_3) | instskip(NEXT) | instid1(VALU_DEP_3)
	v_or_b32_e32 v2, v15, v2
	s_or_b32 s7, s0, s7
	s_delay_alu instid0(SALU_CYCLE_1)
	s_and_not1_b32 exec_lo, exec_lo, s7
	s_cbranch_execnz .LBB5_6
; %bb.7:                                ;   in Loop: Header=BB5_3 Depth=1
	s_or_b32 exec_lo, exec_lo, s7
.LBB5_8:                                ;   in Loop: Header=BB5_3 Depth=1
	s_delay_alu instid0(SALU_CYCLE_1)
	s_or_b32 exec_lo, exec_lo, s6
	s_mov_b32 s4, 0
.LBB5_9:                                ;   in Loop: Header=BB5_3 Depth=1
	s_or_saveexec_b32 s0, s1
	v_dual_mov_b32 v8, s4 :: v_dual_mov_b32 v25, v7
	v_mov_b32_e32 v24, v6
	s_xor_b32 exec_lo, exec_lo, s0
	s_cbranch_execz .LBB5_11
; %bb.10:                               ;   in Loop: Header=BB5_3 Depth=1
	s_waitcnt vmcnt(0)
	flat_load_b64 v[2:3], v[6:7]
	v_add_co_u32 v24, vcc_lo, v6, 8
	v_add_co_ci_u32_e32 v25, vcc_lo, 0, v7, vcc_lo
	s_waitcnt vmcnt(0) lgkmcnt(0)
	v_and_b32_e32 v8, 0xff, v3
	v_and_b32_e32 v12, 0xff00, v3
	;; [unrolled: 1-line block ×4, first 2 shown]
	v_or3_b32 v2, v2, 0, 0
	s_delay_alu instid0(VALU_DEP_4) | instskip(SKIP_1) | instid1(VALU_DEP_2)
	v_or_b32_e32 v12, v8, v12
	v_add_nc_u32_e32 v8, -8, v28
	v_or3_b32 v3, v12, v13, v3
.LBB5_11:                               ;   in Loop: Header=BB5_3 Depth=1
	s_or_b32 exec_lo, exec_lo, s0
                                        ; implicit-def: $vgpr12_vgpr13
                                        ; implicit-def: $sgpr1
	s_delay_alu instid0(SALU_CYCLE_1) | instskip(NEXT) | instid1(VALU_DEP_2)
	s_mov_b32 s0, exec_lo
	v_cmpx_gt_u32_e32 8, v8
	s_xor_b32 s6, exec_lo, s0
	s_cbranch_execz .LBB5_17
; %bb.12:                               ;   in Loop: Header=BB5_3 Depth=1
	v_mov_b32_e32 v12, 0
	v_mov_b32_e32 v13, 0
	s_mov_b32 s7, exec_lo
	v_cmpx_ne_u32_e32 0, v8
	s_cbranch_execz .LBB5_16
; %bb.13:                               ;   in Loop: Header=BB5_3 Depth=1
	v_mov_b32_e32 v12, 0
	v_mov_b32_e32 v13, 0
	s_mov_b64 s[0:1], 0
	s_mov_b32 s13, 0
	s_mov_b64 s[4:5], 0
	.p2align	6
.LBB5_14:                               ;   Parent Loop BB5_3 Depth=1
                                        ; =>  This Inner Loop Header: Depth=2
	s_delay_alu instid0(SALU_CYCLE_1)
	v_add_co_u32 v14, vcc_lo, v24, s4
	v_add_co_ci_u32_e32 v15, vcc_lo, s5, v25, vcc_lo
	s_add_u32 s4, s4, 1
	s_addc_u32 s5, s5, 0
	v_cmp_eq_u32_e32 vcc_lo, s4, v8
	flat_load_u8 v14, v[14:15]
	s_waitcnt vmcnt(0) lgkmcnt(0)
	v_dual_mov_b32 v15, s12 :: v_dual_and_b32 v14, 0xffff, v14
	s_delay_alu instid0(VALU_DEP_1) | instskip(SKIP_3) | instid1(VALU_DEP_1)
	v_lshlrev_b64 v[14:15], s0, v[14:15]
	s_add_u32 s0, s0, 8
	s_addc_u32 s1, s1, 0
	s_or_b32 s13, vcc_lo, s13
	v_or_b32_e32 v13, v15, v13
	s_delay_alu instid0(VALU_DEP_2)
	v_or_b32_e32 v12, v14, v12
	s_and_not1_b32 exec_lo, exec_lo, s13
	s_cbranch_execnz .LBB5_14
; %bb.15:                               ;   in Loop: Header=BB5_3 Depth=1
	s_or_b32 exec_lo, exec_lo, s13
.LBB5_16:                               ;   in Loop: Header=BB5_3 Depth=1
	s_delay_alu instid0(SALU_CYCLE_1)
	s_or_b32 exec_lo, exec_lo, s7
	s_mov_b32 s1, 0
                                        ; implicit-def: $vgpr8
.LBB5_17:                               ;   in Loop: Header=BB5_3 Depth=1
	s_or_saveexec_b32 s0, s6
	v_mov_b32_e32 v16, s1
	s_xor_b32 exec_lo, exec_lo, s0
	s_cbranch_execz .LBB5_19
; %bb.18:                               ;   in Loop: Header=BB5_3 Depth=1
	flat_load_b64 v[12:13], v[24:25]
	v_add_co_u32 v24, vcc_lo, v24, 8
	v_add_nc_u32_e32 v16, -8, v8
	v_add_co_ci_u32_e32 v25, vcc_lo, 0, v25, vcc_lo
	s_waitcnt vmcnt(0) lgkmcnt(0)
	v_and_b32_e32 v14, 0xff, v13
	v_and_b32_e32 v15, 0xff00, v13
	;; [unrolled: 1-line block ×4, first 2 shown]
	v_or3_b32 v12, v12, 0, 0
	s_delay_alu instid0(VALU_DEP_4) | instskip(NEXT) | instid1(VALU_DEP_1)
	v_or_b32_e32 v14, v14, v15
	v_or3_b32 v13, v14, v17, v13
.LBB5_19:                               ;   in Loop: Header=BB5_3 Depth=1
	s_or_b32 exec_lo, exec_lo, s0
                                        ; implicit-def: $sgpr1
	s_delay_alu instid0(SALU_CYCLE_1)
	s_mov_b32 s0, exec_lo
	v_cmpx_gt_u32_e32 8, v16
	s_xor_b32 s6, exec_lo, s0
	s_cbranch_execz .LBB5_25
; %bb.20:                               ;   in Loop: Header=BB5_3 Depth=1
	v_mov_b32_e32 v14, 0
	v_mov_b32_e32 v15, 0
	s_mov_b32 s7, exec_lo
	v_cmpx_ne_u32_e32 0, v16
	s_cbranch_execz .LBB5_24
; %bb.21:                               ;   in Loop: Header=BB5_3 Depth=1
	v_mov_b32_e32 v14, 0
	v_mov_b32_e32 v15, 0
	s_mov_b64 s[0:1], 0
	s_mov_b32 s13, 0
	s_mov_b64 s[4:5], 0
	.p2align	6
.LBB5_22:                               ;   Parent Loop BB5_3 Depth=1
                                        ; =>  This Inner Loop Header: Depth=2
	s_delay_alu instid0(SALU_CYCLE_1)
	v_add_co_u32 v17, vcc_lo, v24, s4
	v_add_co_ci_u32_e32 v18, vcc_lo, s5, v25, vcc_lo
	s_add_u32 s4, s4, 1
	s_addc_u32 s5, s5, 0
	v_cmp_eq_u32_e32 vcc_lo, s4, v16
	flat_load_u8 v8, v[17:18]
	s_waitcnt vmcnt(0) lgkmcnt(0)
	v_dual_mov_b32 v18, s12 :: v_dual_and_b32 v17, 0xffff, v8
	s_delay_alu instid0(VALU_DEP_1) | instskip(SKIP_3) | instid1(VALU_DEP_1)
	v_lshlrev_b64 v[17:18], s0, v[17:18]
	s_add_u32 s0, s0, 8
	s_addc_u32 s1, s1, 0
	s_or_b32 s13, vcc_lo, s13
	v_or_b32_e32 v15, v18, v15
	s_delay_alu instid0(VALU_DEP_2)
	v_or_b32_e32 v14, v17, v14
	s_and_not1_b32 exec_lo, exec_lo, s13
	s_cbranch_execnz .LBB5_22
; %bb.23:                               ;   in Loop: Header=BB5_3 Depth=1
	s_or_b32 exec_lo, exec_lo, s13
.LBB5_24:                               ;   in Loop: Header=BB5_3 Depth=1
	s_delay_alu instid0(SALU_CYCLE_1)
	s_or_b32 exec_lo, exec_lo, s7
	s_mov_b32 s1, 0
                                        ; implicit-def: $vgpr16
.LBB5_25:                               ;   in Loop: Header=BB5_3 Depth=1
	s_or_saveexec_b32 s0, s6
	v_mov_b32_e32 v8, s1
	s_xor_b32 exec_lo, exec_lo, s0
	s_cbranch_execz .LBB5_27
; %bb.26:                               ;   in Loop: Header=BB5_3 Depth=1
	flat_load_b64 v[14:15], v[24:25]
	v_add_co_u32 v24, vcc_lo, v24, 8
	v_add_co_ci_u32_e32 v25, vcc_lo, 0, v25, vcc_lo
	s_waitcnt vmcnt(0) lgkmcnt(0)
	v_and_b32_e32 v8, 0xff, v15
	v_and_b32_e32 v17, 0xff00, v15
	v_and_b32_e32 v18, 0xff0000, v15
	v_and_b32_e32 v15, 0xff000000, v15
	v_or3_b32 v14, v14, 0, 0
	s_delay_alu instid0(VALU_DEP_4) | instskip(SKIP_1) | instid1(VALU_DEP_2)
	v_or_b32_e32 v17, v8, v17
	v_add_nc_u32_e32 v8, -8, v16
	v_or3_b32 v15, v17, v18, v15
.LBB5_27:                               ;   in Loop: Header=BB5_3 Depth=1
	s_or_b32 exec_lo, exec_lo, s0
                                        ; implicit-def: $vgpr16_vgpr17
                                        ; implicit-def: $sgpr1
	s_delay_alu instid0(SALU_CYCLE_1) | instskip(NEXT) | instid1(VALU_DEP_1)
	s_mov_b32 s0, exec_lo
	v_cmpx_gt_u32_e32 8, v8
	s_xor_b32 s6, exec_lo, s0
	s_cbranch_execz .LBB5_33
; %bb.28:                               ;   in Loop: Header=BB5_3 Depth=1
	v_mov_b32_e32 v16, 0
	v_mov_b32_e32 v17, 0
	s_mov_b32 s7, exec_lo
	v_cmpx_ne_u32_e32 0, v8
	s_cbranch_execz .LBB5_32
; %bb.29:                               ;   in Loop: Header=BB5_3 Depth=1
	v_mov_b32_e32 v16, 0
	v_mov_b32_e32 v17, 0
	s_mov_b64 s[0:1], 0
	s_mov_b32 s13, 0
	s_mov_b64 s[4:5], 0
	.p2align	6
.LBB5_30:                               ;   Parent Loop BB5_3 Depth=1
                                        ; =>  This Inner Loop Header: Depth=2
	s_delay_alu instid0(SALU_CYCLE_1)
	v_add_co_u32 v18, vcc_lo, v24, s4
	v_add_co_ci_u32_e32 v19, vcc_lo, s5, v25, vcc_lo
	s_add_u32 s4, s4, 1
	s_addc_u32 s5, s5, 0
	v_cmp_eq_u32_e32 vcc_lo, s4, v8
	flat_load_u8 v18, v[18:19]
	s_waitcnt vmcnt(0) lgkmcnt(0)
	v_dual_mov_b32 v19, s12 :: v_dual_and_b32 v18, 0xffff, v18
	s_delay_alu instid0(VALU_DEP_1) | instskip(SKIP_3) | instid1(VALU_DEP_1)
	v_lshlrev_b64 v[18:19], s0, v[18:19]
	s_add_u32 s0, s0, 8
	s_addc_u32 s1, s1, 0
	s_or_b32 s13, vcc_lo, s13
	v_or_b32_e32 v17, v19, v17
	s_delay_alu instid0(VALU_DEP_2)
	v_or_b32_e32 v16, v18, v16
	s_and_not1_b32 exec_lo, exec_lo, s13
	s_cbranch_execnz .LBB5_30
; %bb.31:                               ;   in Loop: Header=BB5_3 Depth=1
	s_or_b32 exec_lo, exec_lo, s13
.LBB5_32:                               ;   in Loop: Header=BB5_3 Depth=1
	s_delay_alu instid0(SALU_CYCLE_1)
	s_or_b32 exec_lo, exec_lo, s7
	s_mov_b32 s1, 0
                                        ; implicit-def: $vgpr8
.LBB5_33:                               ;   in Loop: Header=BB5_3 Depth=1
	s_or_saveexec_b32 s0, s6
	v_mov_b32_e32 v20, s1
	s_xor_b32 exec_lo, exec_lo, s0
	s_cbranch_execz .LBB5_35
; %bb.34:                               ;   in Loop: Header=BB5_3 Depth=1
	flat_load_b64 v[16:17], v[24:25]
	v_add_co_u32 v24, vcc_lo, v24, 8
	v_add_nc_u32_e32 v20, -8, v8
	v_add_co_ci_u32_e32 v25, vcc_lo, 0, v25, vcc_lo
	s_waitcnt vmcnt(0) lgkmcnt(0)
	v_and_b32_e32 v18, 0xff, v17
	v_and_b32_e32 v19, 0xff00, v17
	;; [unrolled: 1-line block ×4, first 2 shown]
	v_or3_b32 v16, v16, 0, 0
	s_delay_alu instid0(VALU_DEP_4) | instskip(NEXT) | instid1(VALU_DEP_1)
	v_or_b32_e32 v18, v18, v19
	v_or3_b32 v17, v18, v21, v17
.LBB5_35:                               ;   in Loop: Header=BB5_3 Depth=1
	s_or_b32 exec_lo, exec_lo, s0
                                        ; implicit-def: $sgpr1
	s_delay_alu instid0(SALU_CYCLE_1)
	s_mov_b32 s0, exec_lo
	v_cmpx_gt_u32_e32 8, v20
	s_xor_b32 s6, exec_lo, s0
	s_cbranch_execz .LBB5_41
; %bb.36:                               ;   in Loop: Header=BB5_3 Depth=1
	v_mov_b32_e32 v18, 0
	v_mov_b32_e32 v19, 0
	s_mov_b32 s7, exec_lo
	v_cmpx_ne_u32_e32 0, v20
	s_cbranch_execz .LBB5_40
; %bb.37:                               ;   in Loop: Header=BB5_3 Depth=1
	v_mov_b32_e32 v18, 0
	v_mov_b32_e32 v19, 0
	s_mov_b64 s[0:1], 0
	s_mov_b32 s13, 0
	s_mov_b64 s[4:5], 0
	.p2align	6
.LBB5_38:                               ;   Parent Loop BB5_3 Depth=1
                                        ; =>  This Inner Loop Header: Depth=2
	s_delay_alu instid0(SALU_CYCLE_1)
	v_add_co_u32 v21, vcc_lo, v24, s4
	v_add_co_ci_u32_e32 v22, vcc_lo, s5, v25, vcc_lo
	s_add_u32 s4, s4, 1
	s_addc_u32 s5, s5, 0
	v_cmp_eq_u32_e32 vcc_lo, s4, v20
	flat_load_u8 v8, v[21:22]
	s_waitcnt vmcnt(0) lgkmcnt(0)
	v_dual_mov_b32 v22, s12 :: v_dual_and_b32 v21, 0xffff, v8
	s_delay_alu instid0(VALU_DEP_1) | instskip(SKIP_3) | instid1(VALU_DEP_1)
	v_lshlrev_b64 v[21:22], s0, v[21:22]
	s_add_u32 s0, s0, 8
	s_addc_u32 s1, s1, 0
	s_or_b32 s13, vcc_lo, s13
	v_or_b32_e32 v19, v22, v19
	s_delay_alu instid0(VALU_DEP_2)
	v_or_b32_e32 v18, v21, v18
	s_and_not1_b32 exec_lo, exec_lo, s13
	s_cbranch_execnz .LBB5_38
; %bb.39:                               ;   in Loop: Header=BB5_3 Depth=1
	s_or_b32 exec_lo, exec_lo, s13
.LBB5_40:                               ;   in Loop: Header=BB5_3 Depth=1
	s_delay_alu instid0(SALU_CYCLE_1)
	s_or_b32 exec_lo, exec_lo, s7
	s_mov_b32 s1, 0
                                        ; implicit-def: $vgpr20
.LBB5_41:                               ;   in Loop: Header=BB5_3 Depth=1
	s_or_saveexec_b32 s0, s6
	v_mov_b32_e32 v8, s1
	s_xor_b32 exec_lo, exec_lo, s0
	s_cbranch_execz .LBB5_43
; %bb.42:                               ;   in Loop: Header=BB5_3 Depth=1
	flat_load_b64 v[18:19], v[24:25]
	v_add_co_u32 v24, vcc_lo, v24, 8
	v_add_co_ci_u32_e32 v25, vcc_lo, 0, v25, vcc_lo
	s_waitcnt vmcnt(0) lgkmcnt(0)
	v_and_b32_e32 v8, 0xff, v19
	v_and_b32_e32 v21, 0xff00, v19
	;; [unrolled: 1-line block ×4, first 2 shown]
	v_or3_b32 v18, v18, 0, 0
	s_delay_alu instid0(VALU_DEP_4) | instskip(SKIP_1) | instid1(VALU_DEP_2)
	v_or_b32_e32 v21, v8, v21
	v_add_nc_u32_e32 v8, -8, v20
	v_or3_b32 v19, v21, v22, v19
.LBB5_43:                               ;   in Loop: Header=BB5_3 Depth=1
	s_or_b32 exec_lo, exec_lo, s0
                                        ; implicit-def: $vgpr20_vgpr21
                                        ; implicit-def: $sgpr1
	s_delay_alu instid0(SALU_CYCLE_1) | instskip(NEXT) | instid1(VALU_DEP_1)
	s_mov_b32 s0, exec_lo
	v_cmpx_gt_u32_e32 8, v8
	s_xor_b32 s6, exec_lo, s0
	s_cbranch_execz .LBB5_49
; %bb.44:                               ;   in Loop: Header=BB5_3 Depth=1
	v_mov_b32_e32 v20, 0
	v_mov_b32_e32 v21, 0
	s_mov_b32 s7, exec_lo
	v_cmpx_ne_u32_e32 0, v8
	s_cbranch_execz .LBB5_48
; %bb.45:                               ;   in Loop: Header=BB5_3 Depth=1
	v_mov_b32_e32 v20, 0
	v_mov_b32_e32 v21, 0
	s_mov_b64 s[0:1], 0
	s_mov_b32 s13, 0
	s_mov_b64 s[4:5], 0
	.p2align	6
.LBB5_46:                               ;   Parent Loop BB5_3 Depth=1
                                        ; =>  This Inner Loop Header: Depth=2
	s_delay_alu instid0(SALU_CYCLE_1)
	v_add_co_u32 v22, vcc_lo, v24, s4
	v_add_co_ci_u32_e32 v23, vcc_lo, s5, v25, vcc_lo
	s_add_u32 s4, s4, 1
	s_addc_u32 s5, s5, 0
	v_cmp_eq_u32_e32 vcc_lo, s4, v8
	flat_load_u8 v22, v[22:23]
	s_waitcnt vmcnt(0) lgkmcnt(0)
	v_dual_mov_b32 v23, s12 :: v_dual_and_b32 v22, 0xffff, v22
	s_delay_alu instid0(VALU_DEP_1) | instskip(SKIP_3) | instid1(VALU_DEP_1)
	v_lshlrev_b64 v[22:23], s0, v[22:23]
	s_add_u32 s0, s0, 8
	s_addc_u32 s1, s1, 0
	s_or_b32 s13, vcc_lo, s13
	v_or_b32_e32 v21, v23, v21
	s_delay_alu instid0(VALU_DEP_2)
	v_or_b32_e32 v20, v22, v20
	s_and_not1_b32 exec_lo, exec_lo, s13
	s_cbranch_execnz .LBB5_46
; %bb.47:                               ;   in Loop: Header=BB5_3 Depth=1
	s_or_b32 exec_lo, exec_lo, s13
.LBB5_48:                               ;   in Loop: Header=BB5_3 Depth=1
	s_delay_alu instid0(SALU_CYCLE_1)
	s_or_b32 exec_lo, exec_lo, s7
	s_mov_b32 s1, 0
                                        ; implicit-def: $vgpr8
.LBB5_49:                               ;   in Loop: Header=BB5_3 Depth=1
	s_or_saveexec_b32 s0, s6
	v_mov_b32_e32 v26, s1
	s_xor_b32 exec_lo, exec_lo, s0
	s_cbranch_execz .LBB5_51
; %bb.50:                               ;   in Loop: Header=BB5_3 Depth=1
	flat_load_b64 v[20:21], v[24:25]
	v_add_co_u32 v24, vcc_lo, v24, 8
	v_add_nc_u32_e32 v26, -8, v8
	v_add_co_ci_u32_e32 v25, vcc_lo, 0, v25, vcc_lo
	s_waitcnt vmcnt(0) lgkmcnt(0)
	v_and_b32_e32 v22, 0xff, v21
	v_and_b32_e32 v23, 0xff00, v21
	;; [unrolled: 1-line block ×4, first 2 shown]
	v_or3_b32 v20, v20, 0, 0
	s_delay_alu instid0(VALU_DEP_4) | instskip(NEXT) | instid1(VALU_DEP_1)
	v_or_b32_e32 v22, v22, v23
	v_or3_b32 v21, v22, v27, v21
.LBB5_51:                               ;   in Loop: Header=BB5_3 Depth=1
	s_or_b32 exec_lo, exec_lo, s0
	s_delay_alu instid0(SALU_CYCLE_1)
	s_mov_b32 s0, exec_lo
	v_cmpx_gt_u32_e32 8, v26
	s_xor_b32 s4, exec_lo, s0
	s_cbranch_execz .LBB5_57
; %bb.52:                               ;   in Loop: Header=BB5_3 Depth=1
	v_mov_b32_e32 v22, 0
	v_mov_b32_e32 v23, 0
	s_mov_b32 s5, exec_lo
	v_cmpx_ne_u32_e32 0, v26
	s_cbranch_execz .LBB5_56
; %bb.53:                               ;   in Loop: Header=BB5_3 Depth=1
	v_mov_b32_e32 v22, 0
	v_mov_b32_e32 v23, 0
	s_mov_b64 s[0:1], 0
	s_mov_b32 s6, 0
	.p2align	6
.LBB5_54:                               ;   Parent Loop BB5_3 Depth=1
                                        ; =>  This Inner Loop Header: Depth=2
	flat_load_u8 v8, v[24:25]
	v_dual_mov_b32 v31, s12 :: v_dual_add_nc_u32 v26, -1, v26
	v_add_co_u32 v24, vcc_lo, v24, 1
	v_add_co_ci_u32_e32 v25, vcc_lo, 0, v25, vcc_lo
	s_delay_alu instid0(VALU_DEP_3) | instskip(SKIP_2) | instid1(VALU_DEP_1)
	v_cmp_eq_u32_e32 vcc_lo, 0, v26
	s_waitcnt vmcnt(0) lgkmcnt(0)
	v_and_b32_e32 v30, 0xffff, v8
	v_lshlrev_b64 v[30:31], s0, v[30:31]
	s_add_u32 s0, s0, 8
	s_addc_u32 s1, s1, 0
	s_or_b32 s6, vcc_lo, s6
	s_delay_alu instid0(VALU_DEP_1) | instskip(NEXT) | instid1(VALU_DEP_2)
	v_or_b32_e32 v23, v31, v23
	v_or_b32_e32 v22, v30, v22
	s_and_not1_b32 exec_lo, exec_lo, s6
	s_cbranch_execnz .LBB5_54
; %bb.55:                               ;   in Loop: Header=BB5_3 Depth=1
	s_or_b32 exec_lo, exec_lo, s6
.LBB5_56:                               ;   in Loop: Header=BB5_3 Depth=1
	s_delay_alu instid0(SALU_CYCLE_1)
	s_or_b32 exec_lo, exec_lo, s5
                                        ; implicit-def: $vgpr24_vgpr25
.LBB5_57:                               ;   in Loop: Header=BB5_3 Depth=1
	s_and_not1_saveexec_b32 s0, s4
	s_cbranch_execz .LBB5_59
; %bb.58:                               ;   in Loop: Header=BB5_3 Depth=1
	flat_load_b64 v[22:23], v[24:25]
	s_waitcnt vmcnt(0) lgkmcnt(0)
	v_and_b32_e32 v8, 0xff, v23
	v_and_b32_e32 v24, 0xff00, v23
	;; [unrolled: 1-line block ×4, first 2 shown]
	v_or3_b32 v22, v22, 0, 0
	s_delay_alu instid0(VALU_DEP_4) | instskip(NEXT) | instid1(VALU_DEP_1)
	v_or_b32_e32 v8, v8, v24
	v_or3_b32 v23, v8, v25, v23
.LBB5_59:                               ;   in Loop: Header=BB5_3 Depth=1
	s_or_b32 exec_lo, exec_lo, s0
	v_readfirstlane_b32 s0, v32
	v_mov_b32_e32 v30, 0
	v_mov_b32_e32 v31, 0
	s_delay_alu instid0(VALU_DEP_3) | instskip(NEXT) | instid1(VALU_DEP_1)
	v_cmp_eq_u32_e64 s0, s0, v32
	s_and_saveexec_b32 s1, s0
	s_cbranch_execz .LBB5_65
; %bb.60:                               ;   in Loop: Header=BB5_3 Depth=1
	s_waitcnt lgkmcnt(0)
	global_load_b64 v[26:27], v9, s[2:3] offset:24 glc
	s_waitcnt vmcnt(0)
	buffer_gl1_inv
	buffer_gl0_inv
	s_clause 0x1
	global_load_b64 v[24:25], v9, s[2:3] offset:40
	global_load_b64 v[30:31], v9, s[2:3]
	s_mov_b32 s4, exec_lo
	s_waitcnt vmcnt(1)
	v_and_b32_e32 v8, v25, v27
	v_and_b32_e32 v24, v24, v26
	s_delay_alu instid0(VALU_DEP_2) | instskip(NEXT) | instid1(VALU_DEP_2)
	v_mul_lo_u32 v8, v8, 24
	v_mul_hi_u32 v25, v24, 24
	v_mul_lo_u32 v24, v24, 24
	s_delay_alu instid0(VALU_DEP_2) | instskip(SKIP_1) | instid1(VALU_DEP_2)
	v_add_nc_u32_e32 v8, v25, v8
	s_waitcnt vmcnt(0)
	v_add_co_u32 v24, vcc_lo, v30, v24
	s_delay_alu instid0(VALU_DEP_2)
	v_add_co_ci_u32_e32 v25, vcc_lo, v31, v8, vcc_lo
	global_load_b64 v[24:25], v[24:25], off glc
	s_waitcnt vmcnt(0)
	global_atomic_cmpswap_b64 v[30:31], v9, v[24:27], s[2:3] offset:24 glc
	s_waitcnt vmcnt(0)
	buffer_gl1_inv
	buffer_gl0_inv
	v_cmpx_ne_u64_e64 v[30:31], v[26:27]
	s_cbranch_execz .LBB5_64
; %bb.61:                               ;   in Loop: Header=BB5_3 Depth=1
	s_mov_b32 s5, 0
	.p2align	6
.LBB5_62:                               ;   Parent Loop BB5_3 Depth=1
                                        ; =>  This Inner Loop Header: Depth=2
	s_sleep 1
	s_clause 0x1
	global_load_b64 v[24:25], v9, s[2:3] offset:40
	global_load_b64 v[34:35], v9, s[2:3]
	v_dual_mov_b32 v26, v30 :: v_dual_mov_b32 v27, v31
	s_waitcnt vmcnt(1)
	s_delay_alu instid0(VALU_DEP_1) | instskip(SKIP_1) | instid1(VALU_DEP_1)
	v_and_b32_e32 v8, v24, v26
	s_waitcnt vmcnt(0)
	v_mad_u64_u32 v[30:31], null, v8, 24, v[34:35]
	v_and_b32_e32 v34, v25, v27
	s_delay_alu instid0(VALU_DEP_2) | instskip(NEXT) | instid1(VALU_DEP_1)
	v_mov_b32_e32 v8, v31
	v_mad_u64_u32 v[24:25], null, v34, 24, v[8:9]
	s_delay_alu instid0(VALU_DEP_1)
	v_mov_b32_e32 v31, v24
	global_load_b64 v[24:25], v[30:31], off glc
	s_waitcnt vmcnt(0)
	global_atomic_cmpswap_b64 v[30:31], v9, v[24:27], s[2:3] offset:24 glc
	s_waitcnt vmcnt(0)
	buffer_gl1_inv
	buffer_gl0_inv
	v_cmp_eq_u64_e32 vcc_lo, v[30:31], v[26:27]
	s_or_b32 s5, vcc_lo, s5
	s_delay_alu instid0(SALU_CYCLE_1)
	s_and_not1_b32 exec_lo, exec_lo, s5
	s_cbranch_execnz .LBB5_62
; %bb.63:                               ;   in Loop: Header=BB5_3 Depth=1
	s_or_b32 exec_lo, exec_lo, s5
.LBB5_64:                               ;   in Loop: Header=BB5_3 Depth=1
	s_delay_alu instid0(SALU_CYCLE_1)
	s_or_b32 exec_lo, exec_lo, s4
.LBB5_65:                               ;   in Loop: Header=BB5_3 Depth=1
	s_delay_alu instid0(SALU_CYCLE_1)
	s_or_b32 exec_lo, exec_lo, s1
	s_waitcnt lgkmcnt(0)
	s_clause 0x1
	global_load_b64 v[34:35], v9, s[2:3] offset:40
	global_load_b128 v[24:27], v9, s[2:3]
	v_readfirstlane_b32 s4, v30
	v_readfirstlane_b32 s5, v31
	s_mov_b32 s1, exec_lo
	s_waitcnt vmcnt(1)
	v_readfirstlane_b32 s6, v34
	v_readfirstlane_b32 s7, v35
	s_delay_alu instid0(VALU_DEP_1) | instskip(NEXT) | instid1(SALU_CYCLE_1)
	s_and_b64 s[6:7], s[4:5], s[6:7]
	s_mul_i32 s13, s7, 24
	s_mul_hi_u32 s14, s6, 24
	s_mul_i32 s15, s6, 24
	s_add_i32 s14, s14, s13
	s_waitcnt vmcnt(0)
	v_add_co_u32 v30, vcc_lo, v24, s15
	v_add_co_ci_u32_e32 v31, vcc_lo, s14, v25, vcc_lo
	s_and_saveexec_b32 s13, s0
	s_cbranch_execz .LBB5_67
; %bb.66:                               ;   in Loop: Header=BB5_3 Depth=1
	v_mov_b32_e32 v8, s1
	global_store_b128 v[30:31], v[8:11], off offset:8
.LBB5_67:                               ;   in Loop: Header=BB5_3 Depth=1
	s_or_b32 exec_lo, exec_lo, s13
	v_cmp_lt_u64_e32 vcc_lo, 56, v[4:5]
	v_or_b32_e32 v8, 0, v1
	v_or_b32_e32 v34, v0, v33
	v_lshl_add_u32 v35, v28, 2, 28
	s_lshl_b64 s[6:7], s[6:7], 12
	s_delay_alu instid0(SALU_CYCLE_1) | instskip(NEXT) | instid1(VALU_DEP_1)
	v_add_co_u32 v26, s1, v26, s6
	v_add_co_ci_u32_e64 v27, s1, s7, v27, s1
	v_dual_cndmask_b32 v1, v8, v1 :: v_dual_cndmask_b32 v0, v34, v0
	v_and_b32_e32 v8, 0x1e0, v35
	v_lshlrev_b32_e32 v34, 6, v32
	v_readfirstlane_b32 s6, v26
	v_readfirstlane_b32 s7, v27
	s_delay_alu instid0(VALU_DEP_4)
	v_and_or_b32 v0, 0xffffff1f, v0, v8
	s_clause 0x3
	global_store_b128 v34, v[0:3], s[6:7]
	global_store_b128 v34, v[12:15], s[6:7] offset:16
	global_store_b128 v34, v[16:19], s[6:7] offset:32
	global_store_b128 v34, v[20:23], s[6:7] offset:48
	s_and_saveexec_b32 s1, s0
	s_cbranch_execz .LBB5_75
; %bb.68:                               ;   in Loop: Header=BB5_3 Depth=1
	s_clause 0x1
	global_load_b64 v[16:17], v9, s[2:3] offset:32 glc
	global_load_b64 v[0:1], v9, s[2:3] offset:40
	v_dual_mov_b32 v14, s4 :: v_dual_mov_b32 v15, s5
	s_waitcnt vmcnt(0)
	v_readfirstlane_b32 s6, v0
	v_readfirstlane_b32 s7, v1
	s_delay_alu instid0(VALU_DEP_1) | instskip(NEXT) | instid1(SALU_CYCLE_1)
	s_and_b64 s[6:7], s[6:7], s[4:5]
	s_mul_i32 s7, s7, 24
	s_mul_hi_u32 s13, s6, 24
	s_mul_i32 s6, s6, 24
	s_add_i32 s13, s13, s7
	v_add_co_u32 v12, vcc_lo, v24, s6
	v_add_co_ci_u32_e32 v13, vcc_lo, s13, v25, vcc_lo
	s_mov_b32 s6, exec_lo
	global_store_b64 v[12:13], v[16:17], off
	s_waitcnt_vscnt null, 0x0
	global_atomic_cmpswap_b64 v[2:3], v9, v[14:17], s[2:3] offset:32 glc
	s_waitcnt vmcnt(0)
	v_cmpx_ne_u64_e64 v[2:3], v[16:17]
	s_cbranch_execz .LBB5_71
; %bb.69:                               ;   in Loop: Header=BB5_3 Depth=1
	s_mov_b32 s7, 0
.LBB5_70:                               ;   Parent Loop BB5_3 Depth=1
                                        ; =>  This Inner Loop Header: Depth=2
	v_dual_mov_b32 v0, s4 :: v_dual_mov_b32 v1, s5
	s_sleep 1
	global_store_b64 v[12:13], v[2:3], off
	s_waitcnt_vscnt null, 0x0
	global_atomic_cmpswap_b64 v[0:1], v9, v[0:3], s[2:3] offset:32 glc
	s_waitcnt vmcnt(0)
	v_cmp_eq_u64_e32 vcc_lo, v[0:1], v[2:3]
	v_dual_mov_b32 v3, v1 :: v_dual_mov_b32 v2, v0
	s_or_b32 s7, vcc_lo, s7
	s_delay_alu instid0(SALU_CYCLE_1)
	s_and_not1_b32 exec_lo, exec_lo, s7
	s_cbranch_execnz .LBB5_70
.LBB5_71:                               ;   in Loop: Header=BB5_3 Depth=1
	s_or_b32 exec_lo, exec_lo, s6
	global_load_b64 v[0:1], v9, s[2:3] offset:16
	s_mov_b32 s7, exec_lo
	s_mov_b32 s6, exec_lo
	v_mbcnt_lo_u32_b32 v2, s7, 0
	s_delay_alu instid0(VALU_DEP_1)
	v_cmpx_eq_u32_e32 0, v2
	s_cbranch_execz .LBB5_73
; %bb.72:                               ;   in Loop: Header=BB5_3 Depth=1
	s_bcnt1_i32_b32 s7, s7
	s_delay_alu instid0(SALU_CYCLE_1)
	v_mov_b32_e32 v8, s7
	s_waitcnt vmcnt(0)
	global_atomic_add_u64 v[0:1], v[8:9], off offset:8
.LBB5_73:                               ;   in Loop: Header=BB5_3 Depth=1
	s_or_b32 exec_lo, exec_lo, s6
	s_waitcnt vmcnt(0)
	global_load_b64 v[2:3], v[0:1], off offset:16
	s_waitcnt vmcnt(0)
	v_cmp_eq_u64_e32 vcc_lo, 0, v[2:3]
	s_cbranch_vccnz .LBB5_75
; %bb.74:                               ;   in Loop: Header=BB5_3 Depth=1
	global_load_b32 v8, v[0:1], off offset:24
	s_waitcnt vmcnt(0)
	v_and_b32_e32 v0, 0xffffff, v8
	s_waitcnt_vscnt null, 0x0
	global_store_b64 v[2:3], v[8:9], off
	v_readfirstlane_b32 m0, v0
	s_sendmsg sendmsg(MSG_INTERRUPT)
.LBB5_75:                               ;   in Loop: Header=BB5_3 Depth=1
	s_or_b32 exec_lo, exec_lo, s1
	v_add_co_u32 v0, vcc_lo, v26, v34
	v_add_co_ci_u32_e32 v1, vcc_lo, 0, v27, vcc_lo
	s_branch .LBB5_79
	.p2align	6
.LBB5_76:                               ;   in Loop: Header=BB5_79 Depth=2
	s_or_b32 exec_lo, exec_lo, s1
	s_delay_alu instid0(VALU_DEP_1) | instskip(NEXT) | instid1(VALU_DEP_1)
	v_readfirstlane_b32 s1, v2
	s_cmp_eq_u32 s1, 0
	s_cbranch_scc1 .LBB5_78
; %bb.77:                               ;   in Loop: Header=BB5_79 Depth=2
	s_sleep 1
	s_cbranch_execnz .LBB5_79
	s_branch .LBB5_81
	.p2align	6
.LBB5_78:                               ;   in Loop: Header=BB5_3 Depth=1
	s_branch .LBB5_81
.LBB5_79:                               ;   Parent Loop BB5_3 Depth=1
                                        ; =>  This Inner Loop Header: Depth=2
	v_mov_b32_e32 v2, 1
	s_and_saveexec_b32 s1, s0
	s_cbranch_execz .LBB5_76
; %bb.80:                               ;   in Loop: Header=BB5_79 Depth=2
	global_load_b32 v2, v[30:31], off offset:20 glc
	s_waitcnt vmcnt(0)
	buffer_gl1_inv
	buffer_gl0_inv
	v_and_b32_e32 v2, 1, v2
	s_branch .LBB5_76
.LBB5_81:                               ;   in Loop: Header=BB5_3 Depth=1
	global_load_b128 v[0:3], v[0:1], off
	s_and_saveexec_b32 s1, s0
	s_cbranch_execz .LBB5_2
; %bb.82:                               ;   in Loop: Header=BB5_3 Depth=1
	s_clause 0x2
	global_load_b64 v[2:3], v9, s[2:3] offset:40
	global_load_b64 v[16:17], v9, s[2:3] offset:24 glc
	global_load_b64 v[14:15], v9, s[2:3]
	s_waitcnt vmcnt(2)
	v_add_co_u32 v8, vcc_lo, v2, 1
	v_add_co_ci_u32_e32 v18, vcc_lo, 0, v3, vcc_lo
	s_delay_alu instid0(VALU_DEP_2) | instskip(NEXT) | instid1(VALU_DEP_2)
	v_add_co_u32 v12, vcc_lo, v8, s4
	v_add_co_ci_u32_e32 v13, vcc_lo, s5, v18, vcc_lo
	s_delay_alu instid0(VALU_DEP_1) | instskip(SKIP_1) | instid1(VALU_DEP_1)
	v_cmp_eq_u64_e32 vcc_lo, 0, v[12:13]
	v_dual_cndmask_b32 v13, v13, v18 :: v_dual_cndmask_b32 v12, v12, v8
	v_and_b32_e32 v3, v13, v3
	s_delay_alu instid0(VALU_DEP_2) | instskip(NEXT) | instid1(VALU_DEP_1)
	v_and_b32_e32 v2, v12, v2
	v_mul_hi_u32 v8, v2, 24
	v_mul_lo_u32 v2, v2, 24
	s_waitcnt vmcnt(0)
	s_delay_alu instid0(VALU_DEP_1) | instskip(SKIP_2) | instid1(VALU_DEP_1)
	v_add_co_u32 v2, vcc_lo, v14, v2
	v_mov_b32_e32 v14, v16
	v_mul_lo_u32 v3, v3, 24
	v_add_nc_u32_e32 v3, v8, v3
	s_delay_alu instid0(VALU_DEP_1)
	v_add_co_ci_u32_e32 v3, vcc_lo, v15, v3, vcc_lo
	v_mov_b32_e32 v15, v17
	global_store_b64 v[2:3], v[16:17], off
	s_waitcnt_vscnt null, 0x0
	global_atomic_cmpswap_b64 v[14:15], v9, v[12:15], s[2:3] offset:24 glc
	s_waitcnt vmcnt(0)
	v_cmp_ne_u64_e32 vcc_lo, v[14:15], v[16:17]
	s_and_b32 exec_lo, exec_lo, vcc_lo
	s_cbranch_execz .LBB5_2
; %bb.83:                               ;   in Loop: Header=BB5_3 Depth=1
	s_mov_b32 s0, 0
.LBB5_84:                               ;   Parent Loop BB5_3 Depth=1
                                        ; =>  This Inner Loop Header: Depth=2
	s_sleep 1
	global_store_b64 v[2:3], v[14:15], off
	s_waitcnt_vscnt null, 0x0
	global_atomic_cmpswap_b64 v[16:17], v9, v[12:15], s[2:3] offset:24 glc
	s_waitcnt vmcnt(0)
	v_cmp_eq_u64_e32 vcc_lo, v[16:17], v[14:15]
	v_dual_mov_b32 v14, v16 :: v_dual_mov_b32 v15, v17
	s_or_b32 s0, vcc_lo, s0
	s_delay_alu instid0(SALU_CYCLE_1)
	s_and_not1_b32 exec_lo, exec_lo, s0
	s_cbranch_execnz .LBB5_84
	s_branch .LBB5_2
.LBB5_85:
	s_or_b32 exec_lo, exec_lo, s11
                                        ; implicit-def: $vgpr3
                                        ; implicit-def: $vgpr32
.LBB5_86:
	s_and_not1_saveexec_b32 s1, s10
	s_cbranch_execz .LBB5_108
; %bb.87:
	s_load_b64 s[2:3], s[8:9], 0x50
	v_readfirstlane_b32 s0, v32
	v_mov_b32_e32 v8, 0
	v_mov_b32_e32 v9, 0
	s_delay_alu instid0(VALU_DEP_3) | instskip(NEXT) | instid1(VALU_DEP_1)
	v_cmp_eq_u32_e64 s0, s0, v32
	s_and_saveexec_b32 s4, s0
	s_cbranch_execz .LBB5_93
; %bb.88:
	s_waitcnt vmcnt(0)
	v_mov_b32_e32 v0, 0
	s_mov_b32 s5, exec_lo
	s_waitcnt lgkmcnt(0)
	global_load_b64 v[6:7], v0, s[2:3] offset:24 glc
	s_waitcnt vmcnt(0)
	buffer_gl1_inv
	buffer_gl0_inv
	s_clause 0x1
	global_load_b64 v[4:5], v0, s[2:3] offset:40
	global_load_b64 v[8:9], v0, s[2:3]
	s_waitcnt vmcnt(1)
	v_and_b32_e32 v2, v5, v7
	v_and_b32_e32 v4, v4, v6
	s_delay_alu instid0(VALU_DEP_2) | instskip(NEXT) | instid1(VALU_DEP_2)
	v_mul_lo_u32 v2, v2, 24
	v_mul_hi_u32 v5, v4, 24
	v_mul_lo_u32 v4, v4, 24
	s_delay_alu instid0(VALU_DEP_2) | instskip(SKIP_1) | instid1(VALU_DEP_2)
	v_add_nc_u32_e32 v2, v5, v2
	s_waitcnt vmcnt(0)
	v_add_co_u32 v4, vcc_lo, v8, v4
	s_delay_alu instid0(VALU_DEP_2)
	v_add_co_ci_u32_e32 v5, vcc_lo, v9, v2, vcc_lo
	global_load_b64 v[4:5], v[4:5], off glc
	s_waitcnt vmcnt(0)
	global_atomic_cmpswap_b64 v[8:9], v0, v[4:7], s[2:3] offset:24 glc
	s_waitcnt vmcnt(0)
	buffer_gl1_inv
	buffer_gl0_inv
	v_cmpx_ne_u64_e64 v[8:9], v[6:7]
	s_cbranch_execz .LBB5_92
; %bb.89:
	s_mov_b32 s6, 0
	.p2align	6
.LBB5_90:                               ; =>This Inner Loop Header: Depth=1
	s_sleep 1
	s_clause 0x1
	global_load_b64 v[4:5], v0, s[2:3] offset:40
	global_load_b64 v[10:11], v0, s[2:3]
	v_dual_mov_b32 v6, v8 :: v_dual_mov_b32 v7, v9
	s_waitcnt vmcnt(1)
	s_delay_alu instid0(VALU_DEP_1) | instskip(SKIP_1) | instid1(VALU_DEP_1)
	v_and_b32_e32 v2, v4, v6
	s_waitcnt vmcnt(0)
	v_mad_u64_u32 v[8:9], null, v2, 24, v[10:11]
	v_and_b32_e32 v10, v5, v7
	s_delay_alu instid0(VALU_DEP_2) | instskip(NEXT) | instid1(VALU_DEP_1)
	v_mov_b32_e32 v2, v9
	v_mad_u64_u32 v[4:5], null, v10, 24, v[2:3]
	s_delay_alu instid0(VALU_DEP_1)
	v_mov_b32_e32 v9, v4
	global_load_b64 v[4:5], v[8:9], off glc
	s_waitcnt vmcnt(0)
	global_atomic_cmpswap_b64 v[8:9], v0, v[4:7], s[2:3] offset:24 glc
	s_waitcnt vmcnt(0)
	buffer_gl1_inv
	buffer_gl0_inv
	v_cmp_eq_u64_e32 vcc_lo, v[8:9], v[6:7]
	s_or_b32 s6, vcc_lo, s6
	s_delay_alu instid0(SALU_CYCLE_1)
	s_and_not1_b32 exec_lo, exec_lo, s6
	s_cbranch_execnz .LBB5_90
; %bb.91:
	s_or_b32 exec_lo, exec_lo, s6
.LBB5_92:
	s_delay_alu instid0(SALU_CYCLE_1)
	s_or_b32 exec_lo, exec_lo, s5
.LBB5_93:
	s_delay_alu instid0(SALU_CYCLE_1)
	s_or_b32 exec_lo, exec_lo, s4
	s_waitcnt vmcnt(0)
	v_mov_b32_e32 v2, 0
	v_readfirstlane_b32 s4, v8
	v_readfirstlane_b32 s5, v9
	s_mov_b32 s8, exec_lo
	s_waitcnt lgkmcnt(0)
	s_clause 0x1
	global_load_b64 v[10:11], v2, s[2:3] offset:40
	global_load_b128 v[4:7], v2, s[2:3]
	s_waitcnt vmcnt(1)
	v_readfirstlane_b32 s6, v10
	v_readfirstlane_b32 s7, v11
	s_delay_alu instid0(VALU_DEP_1) | instskip(NEXT) | instid1(SALU_CYCLE_1)
	s_and_b64 s[6:7], s[4:5], s[6:7]
	s_mul_i32 s9, s7, 24
	s_mul_hi_u32 s10, s6, 24
	s_mul_i32 s11, s6, 24
	s_add_i32 s10, s10, s9
	s_waitcnt vmcnt(0)
	v_add_co_u32 v8, vcc_lo, v4, s11
	v_add_co_ci_u32_e32 v9, vcc_lo, s10, v5, vcc_lo
	s_and_saveexec_b32 s9, s0
	s_cbranch_execz .LBB5_95
; %bb.94:
	v_dual_mov_b32 v10, s8 :: v_dual_mov_b32 v11, v2
	v_dual_mov_b32 v12, 2 :: v_dual_mov_b32 v13, 1
	global_store_b128 v[8:9], v[10:13], off offset:8
.LBB5_95:
	s_or_b32 exec_lo, exec_lo, s9
	s_lshl_b64 s[6:7], s[6:7], 12
	v_lshlrev_b32_e32 v14, 6, v32
	v_add_co_u32 v6, vcc_lo, v6, s6
	v_add_co_ci_u32_e32 v7, vcc_lo, s7, v7, vcc_lo
	s_mov_b32 s8, 0
	v_and_or_b32 v0, 0xffffff1f, v3, 32
	v_mov_b32_e32 v3, v2
	v_readfirstlane_b32 s6, v6
	s_mov_b32 s11, s8
	v_add_co_u32 v6, vcc_lo, v6, v14
	s_mov_b32 s9, s8
	s_mov_b32 s10, s8
	v_readfirstlane_b32 s7, v7
	v_dual_mov_b32 v13, s11 :: v_dual_mov_b32 v12, s10
	v_add_co_ci_u32_e32 v7, vcc_lo, 0, v7, vcc_lo
	v_dual_mov_b32 v11, s9 :: v_dual_mov_b32 v10, s8
	s_clause 0x3
	global_store_b128 v14, v[0:3], s[6:7]
	global_store_b128 v14, v[10:13], s[6:7] offset:16
	global_store_b128 v14, v[10:13], s[6:7] offset:32
	global_store_b128 v14, v[10:13], s[6:7] offset:48
	s_and_saveexec_b32 s6, s0
	s_cbranch_execz .LBB5_102
; %bb.96:
	v_mov_b32_e32 v10, 0
	s_mov_b32 s7, exec_lo
	s_clause 0x1
	global_load_b64 v[13:14], v10, s[2:3] offset:32 glc
	global_load_b64 v[0:1], v10, s[2:3] offset:40
	v_dual_mov_b32 v11, s4 :: v_dual_mov_b32 v12, s5
	s_waitcnt vmcnt(0)
	v_and_b32_e32 v1, s5, v1
	v_and_b32_e32 v0, s4, v0
	s_delay_alu instid0(VALU_DEP_2) | instskip(NEXT) | instid1(VALU_DEP_2)
	v_mul_lo_u32 v1, v1, 24
	v_mul_hi_u32 v2, v0, 24
	v_mul_lo_u32 v0, v0, 24
	s_delay_alu instid0(VALU_DEP_2) | instskip(NEXT) | instid1(VALU_DEP_2)
	v_add_nc_u32_e32 v1, v2, v1
	v_add_co_u32 v4, vcc_lo, v4, v0
	s_delay_alu instid0(VALU_DEP_2)
	v_add_co_ci_u32_e32 v5, vcc_lo, v5, v1, vcc_lo
	global_store_b64 v[4:5], v[13:14], off
	s_waitcnt_vscnt null, 0x0
	global_atomic_cmpswap_b64 v[2:3], v10, v[11:14], s[2:3] offset:32 glc
	s_waitcnt vmcnt(0)
	v_cmpx_ne_u64_e64 v[2:3], v[13:14]
	s_cbranch_execz .LBB5_98
.LBB5_97:                               ; =>This Inner Loop Header: Depth=1
	v_dual_mov_b32 v0, s4 :: v_dual_mov_b32 v1, s5
	s_sleep 1
	global_store_b64 v[4:5], v[2:3], off
	s_waitcnt_vscnt null, 0x0
	global_atomic_cmpswap_b64 v[0:1], v10, v[0:3], s[2:3] offset:32 glc
	s_waitcnt vmcnt(0)
	v_cmp_eq_u64_e32 vcc_lo, v[0:1], v[2:3]
	v_dual_mov_b32 v3, v1 :: v_dual_mov_b32 v2, v0
	s_or_b32 s8, vcc_lo, s8
	s_delay_alu instid0(SALU_CYCLE_1)
	s_and_not1_b32 exec_lo, exec_lo, s8
	s_cbranch_execnz .LBB5_97
.LBB5_98:
	s_or_b32 exec_lo, exec_lo, s7
	v_mov_b32_e32 v3, 0
	s_mov_b32 s8, exec_lo
	s_mov_b32 s7, exec_lo
	v_mbcnt_lo_u32_b32 v2, s8, 0
	global_load_b64 v[0:1], v3, s[2:3] offset:16
	v_cmpx_eq_u32_e32 0, v2
	s_cbranch_execz .LBB5_100
; %bb.99:
	s_bcnt1_i32_b32 s8, s8
	s_delay_alu instid0(SALU_CYCLE_1)
	v_mov_b32_e32 v2, s8
	s_waitcnt vmcnt(0)
	global_atomic_add_u64 v[0:1], v[2:3], off offset:8
.LBB5_100:
	s_or_b32 exec_lo, exec_lo, s7
	s_waitcnt vmcnt(0)
	global_load_b64 v[2:3], v[0:1], off offset:16
	s_waitcnt vmcnt(0)
	v_cmp_eq_u64_e32 vcc_lo, 0, v[2:3]
	s_cbranch_vccnz .LBB5_102
; %bb.101:
	global_load_b32 v0, v[0:1], off offset:24
	s_waitcnt vmcnt(0)
	v_dual_mov_b32 v1, 0 :: v_dual_and_b32 v4, 0xffffff, v0
	s_waitcnt_vscnt null, 0x0
	global_store_b64 v[2:3], v[0:1], off
	v_readfirstlane_b32 m0, v4
	s_sendmsg sendmsg(MSG_INTERRUPT)
.LBB5_102:
	s_or_b32 exec_lo, exec_lo, s6
	s_branch .LBB5_106
	.p2align	6
.LBB5_103:                              ;   in Loop: Header=BB5_106 Depth=1
	s_or_b32 exec_lo, exec_lo, s6
	s_delay_alu instid0(VALU_DEP_1) | instskip(NEXT) | instid1(VALU_DEP_1)
	v_readfirstlane_b32 s6, v0
	s_cmp_eq_u32 s6, 0
	s_cbranch_scc1 .LBB5_105
; %bb.104:                              ;   in Loop: Header=BB5_106 Depth=1
	s_sleep 1
	s_cbranch_execnz .LBB5_106
	s_branch .LBB5_109
	.p2align	6
.LBB5_105:
	s_branch .LBB5_109
.LBB5_106:                              ; =>This Inner Loop Header: Depth=1
	v_mov_b32_e32 v0, 1
	s_and_saveexec_b32 s6, s0
	s_cbranch_execz .LBB5_103
; %bb.107:                              ;   in Loop: Header=BB5_106 Depth=1
	global_load_b32 v0, v[8:9], off offset:20 glc
	s_waitcnt vmcnt(0)
	buffer_gl1_inv
	buffer_gl0_inv
	v_and_b32_e32 v0, 1, v0
	s_branch .LBB5_103
.LBB5_108:
	s_or_b32 exec_lo, exec_lo, s1
	s_waitcnt vmcnt(0) lgkmcnt(0)
	s_setpc_b64 s[30:31]
.LBB5_109:
	global_load_b64 v[0:1], v[6:7], off
	s_and_saveexec_b32 s6, s0
	s_cbranch_execz .LBB5_113
; %bb.110:
	v_mov_b32_e32 v8, 0
	s_clause 0x2
	global_load_b64 v[4:5], v8, s[2:3] offset:40
	global_load_b64 v[9:10], v8, s[2:3] offset:24 glc
	global_load_b64 v[6:7], v8, s[2:3]
	s_waitcnt vmcnt(2)
	v_add_co_u32 v11, vcc_lo, v4, 1
	v_add_co_ci_u32_e32 v12, vcc_lo, 0, v5, vcc_lo
	s_delay_alu instid0(VALU_DEP_2) | instskip(NEXT) | instid1(VALU_DEP_2)
	v_add_co_u32 v2, vcc_lo, v11, s4
	v_add_co_ci_u32_e32 v3, vcc_lo, s5, v12, vcc_lo
	s_delay_alu instid0(VALU_DEP_1) | instskip(SKIP_1) | instid1(VALU_DEP_1)
	v_cmp_eq_u64_e32 vcc_lo, 0, v[2:3]
	v_dual_cndmask_b32 v3, v3, v12 :: v_dual_cndmask_b32 v2, v2, v11
	v_and_b32_e32 v5, v3, v5
	s_delay_alu instid0(VALU_DEP_2) | instskip(NEXT) | instid1(VALU_DEP_2)
	v_and_b32_e32 v4, v2, v4
	v_mul_lo_u32 v5, v5, 24
	s_delay_alu instid0(VALU_DEP_2) | instskip(SKIP_1) | instid1(VALU_DEP_2)
	v_mul_hi_u32 v11, v4, 24
	v_mul_lo_u32 v4, v4, 24
	v_add_nc_u32_e32 v5, v11, v5
	s_waitcnt vmcnt(0)
	s_delay_alu instid0(VALU_DEP_2) | instskip(SKIP_1) | instid1(VALU_DEP_3)
	v_add_co_u32 v6, vcc_lo, v6, v4
	v_mov_b32_e32 v4, v9
	v_add_co_ci_u32_e32 v7, vcc_lo, v7, v5, vcc_lo
	v_mov_b32_e32 v5, v10
	global_store_b64 v[6:7], v[9:10], off
	s_waitcnt_vscnt null, 0x0
	global_atomic_cmpswap_b64 v[4:5], v8, v[2:5], s[2:3] offset:24 glc
	s_waitcnt vmcnt(0)
	v_cmp_ne_u64_e32 vcc_lo, v[4:5], v[9:10]
	s_and_b32 exec_lo, exec_lo, vcc_lo
	s_cbranch_execz .LBB5_113
; %bb.111:
	s_mov_b32 s0, 0
.LBB5_112:                              ; =>This Inner Loop Header: Depth=1
	s_sleep 1
	global_store_b64 v[6:7], v[4:5], off
	s_waitcnt_vscnt null, 0x0
	global_atomic_cmpswap_b64 v[9:10], v8, v[2:5], s[2:3] offset:24 glc
	s_waitcnt vmcnt(0)
	v_cmp_eq_u64_e32 vcc_lo, v[9:10], v[4:5]
	v_dual_mov_b32 v4, v9 :: v_dual_mov_b32 v5, v10
	s_or_b32 s0, vcc_lo, s0
	s_delay_alu instid0(SALU_CYCLE_1)
	s_and_not1_b32 exec_lo, exec_lo, s0
	s_cbranch_execnz .LBB5_112
.LBB5_113:
	s_or_b32 exec_lo, exec_lo, s6
	s_delay_alu instid0(SALU_CYCLE_1)
	s_or_b32 exec_lo, exec_lo, s1
	s_waitcnt vmcnt(0) lgkmcnt(0)
	s_setpc_b64 s[30:31]
.Lfunc_end5:
	.size	__ockl_printf_append_string_n, .Lfunc_end5-__ockl_printf_append_string_n
                                        ; -- End function
	.section	.AMDGPU.csdata,"",@progbits
; Function info:
; codeLenInByte = 4760
; NumSgprs: 34
; NumVgprs: 36
; ScratchSize: 0
; MemoryBound: 0
	.text
	.p2align	2                               ; -- Begin function __ockl_printf_append_args
	.type	__ockl_printf_append_args,@function
__ockl_printf_append_args:              ; @__ockl_printf_append_args
; %bb.0:
	s_waitcnt vmcnt(0) expcnt(0) lgkmcnt(0)
	s_load_b64 s[2:3], s[8:9], 0x50
	v_mbcnt_lo_u32_b32 v15, -1, 0
	v_mov_b32_e32 v11, 0
	v_mov_b32_e32 v12, 0
	s_delay_alu instid0(VALU_DEP_3) | instskip(NEXT) | instid1(VALU_DEP_1)
	v_readfirstlane_b32 s0, v15
	v_cmp_eq_u32_e64 s0, s0, v15
	s_delay_alu instid0(VALU_DEP_1)
	s_and_saveexec_b32 s1, s0
	s_cbranch_execz .LBB6_6
; %bb.1:
	v_mov_b32_e32 v5, 0
	s_mov_b32 s4, exec_lo
	s_waitcnt lgkmcnt(0)
	global_load_b64 v[8:9], v5, s[2:3] offset:24 glc
	s_waitcnt vmcnt(0)
	buffer_gl1_inv
	buffer_gl0_inv
	s_clause 0x1
	global_load_b64 v[6:7], v5, s[2:3] offset:40
	global_load_b64 v[10:11], v5, s[2:3]
	s_waitcnt vmcnt(1)
	v_and_b32_e32 v6, v6, v8
	v_and_b32_e32 v7, v7, v9
	s_delay_alu instid0(VALU_DEP_2) | instskip(NEXT) | instid1(VALU_DEP_2)
	v_mul_hi_u32 v12, v6, 24
	v_mul_lo_u32 v7, v7, 24
	v_mul_lo_u32 v6, v6, 24
	s_delay_alu instid0(VALU_DEP_2) | instskip(SKIP_1) | instid1(VALU_DEP_2)
	v_add_nc_u32_e32 v7, v12, v7
	s_waitcnt vmcnt(0)
	v_add_co_u32 v6, vcc_lo, v10, v6
	s_delay_alu instid0(VALU_DEP_2)
	v_add_co_ci_u32_e32 v7, vcc_lo, v11, v7, vcc_lo
	global_load_b64 v[6:7], v[6:7], off glc
	s_waitcnt vmcnt(0)
	global_atomic_cmpswap_b64 v[11:12], v5, v[6:9], s[2:3] offset:24 glc
	s_waitcnt vmcnt(0)
	buffer_gl1_inv
	buffer_gl0_inv
	v_cmpx_ne_u64_e64 v[11:12], v[8:9]
	s_cbranch_execz .LBB6_5
; %bb.2:
	s_mov_b32 s5, 0
	.p2align	6
.LBB6_3:                                ; =>This Inner Loop Header: Depth=1
	s_sleep 1
	s_clause 0x1
	global_load_b64 v[6:7], v5, s[2:3] offset:40
	global_load_b64 v[13:14], v5, s[2:3]
	v_dual_mov_b32 v8, v11 :: v_dual_mov_b32 v9, v12
	s_waitcnt vmcnt(1)
	s_delay_alu instid0(VALU_DEP_1) | instskip(NEXT) | instid1(VALU_DEP_2)
	v_and_b32_e32 v6, v6, v8
	v_and_b32_e32 v7, v7, v9
	s_waitcnt vmcnt(0)
	s_delay_alu instid0(VALU_DEP_2) | instskip(NEXT) | instid1(VALU_DEP_1)
	v_mad_u64_u32 v[10:11], null, v6, 24, v[13:14]
	v_mov_b32_e32 v6, v11
	s_delay_alu instid0(VALU_DEP_1)
	v_mad_u64_u32 v[11:12], null, v7, 24, v[6:7]
	global_load_b64 v[6:7], v[10:11], off glc
	s_waitcnt vmcnt(0)
	global_atomic_cmpswap_b64 v[11:12], v5, v[6:9], s[2:3] offset:24 glc
	s_waitcnt vmcnt(0)
	buffer_gl1_inv
	buffer_gl0_inv
	v_cmp_eq_u64_e32 vcc_lo, v[11:12], v[8:9]
	s_or_b32 s5, vcc_lo, s5
	s_delay_alu instid0(SALU_CYCLE_1)
	s_and_not1_b32 exec_lo, exec_lo, s5
	s_cbranch_execnz .LBB6_3
; %bb.4:
	s_or_b32 exec_lo, exec_lo, s5
.LBB6_5:
	s_delay_alu instid0(SALU_CYCLE_1)
	s_or_b32 exec_lo, exec_lo, s4
.LBB6_6:
	s_delay_alu instid0(SALU_CYCLE_1)
	s_or_b32 exec_lo, exec_lo, s1
	v_mov_b32_e32 v10, 0
	v_readfirstlane_b32 s4, v11
	v_readfirstlane_b32 s5, v12
	s_mov_b32 s1, exec_lo
	s_waitcnt lgkmcnt(0)
	s_clause 0x1
	global_load_b64 v[13:14], v10, s[2:3] offset:40
	global_load_b128 v[5:8], v10, s[2:3]
	s_waitcnt vmcnt(1)
	v_readfirstlane_b32 s6, v13
	v_readfirstlane_b32 s7, v14
	s_delay_alu instid0(VALU_DEP_1) | instskip(NEXT) | instid1(SALU_CYCLE_1)
	s_and_b64 s[6:7], s[4:5], s[6:7]
	s_mul_i32 s8, s7, 24
	s_mul_hi_u32 s9, s6, 24
	s_mul_i32 s10, s6, 24
	s_add_i32 s9, s9, s8
	s_waitcnt vmcnt(0)
	v_add_co_u32 v13, vcc_lo, v5, s10
	v_add_co_ci_u32_e32 v14, vcc_lo, s9, v6, vcc_lo
	s_and_saveexec_b32 s8, s0
	s_cbranch_execz .LBB6_8
; %bb.7:
	v_dual_mov_b32 v9, s1 :: v_dual_mov_b32 v12, 1
	v_mov_b32_e32 v11, 2
	global_store_b128 v[13:14], v[9:12], off offset:8
.LBB6_8:
	s_or_b32 exec_lo, exec_lo, s8
	v_or_b32_e32 v9, 2, v0
	v_cmp_eq_u32_e32 vcc_lo, 0, v4
	s_lshl_b64 s[6:7], s[6:7], 12
	s_mov_b32 s8, 0
	v_lshlrev_b32_e32 v11, 6, v15
	s_mov_b32 s9, s8
	v_cndmask_b32_e32 v0, v9, v0, vcc_lo
	v_add_co_u32 v4, vcc_lo, v7, s6
	v_add_co_ci_u32_e32 v7, vcc_lo, s7, v8, vcc_lo
	s_mov_b32 s10, s8
	s_mov_b32 s11, s8
	v_and_or_b32 v0, 0xffffff1f, v0, 32
	v_readfirstlane_b32 s6, v4
	v_readfirstlane_b32 s7, v7
	v_dual_mov_b32 v7, s8 :: v_dual_mov_b32 v8, s9
	v_dual_mov_b32 v9, s10 :: v_dual_mov_b32 v10, s11
	s_clause 0x3
	global_store_b128 v11, v[0:3], s[6:7]
	global_store_b128 v11, v[7:10], s[6:7] offset:16
	global_store_b128 v11, v[7:10], s[6:7] offset:32
	;; [unrolled: 1-line block ×3, first 2 shown]
	s_and_saveexec_b32 s1, s0
	s_cbranch_execz .LBB6_16
; %bb.9:
	v_mov_b32_e32 v7, 0
	v_mov_b32_e32 v9, s5
	s_mov_b32 s6, exec_lo
	s_clause 0x1
	global_load_b64 v[10:11], v7, s[2:3] offset:32 glc
	global_load_b64 v[0:1], v7, s[2:3] offset:40
	v_mov_b32_e32 v8, s4
	s_waitcnt vmcnt(0)
	v_and_b32_e32 v0, s4, v0
	v_and_b32_e32 v1, s5, v1
	s_delay_alu instid0(VALU_DEP_2) | instskip(NEXT) | instid1(VALU_DEP_2)
	v_mul_hi_u32 v2, v0, 24
	v_mul_lo_u32 v1, v1, 24
	v_mul_lo_u32 v0, v0, 24
	s_delay_alu instid0(VALU_DEP_2) | instskip(NEXT) | instid1(VALU_DEP_2)
	v_add_nc_u32_e32 v1, v2, v1
	v_add_co_u32 v4, vcc_lo, v5, v0
	s_delay_alu instid0(VALU_DEP_2)
	v_add_co_ci_u32_e32 v5, vcc_lo, v6, v1, vcc_lo
	global_store_b64 v[4:5], v[10:11], off
	s_waitcnt_vscnt null, 0x0
	global_atomic_cmpswap_b64 v[2:3], v7, v[8:11], s[2:3] offset:32 glc
	s_waitcnt vmcnt(0)
	v_cmpx_ne_u64_e64 v[2:3], v[10:11]
	s_cbranch_execz .LBB6_12
; %bb.10:
	s_mov_b32 s7, 0
.LBB6_11:                               ; =>This Inner Loop Header: Depth=1
	v_dual_mov_b32 v0, s4 :: v_dual_mov_b32 v1, s5
	s_sleep 1
	global_store_b64 v[4:5], v[2:3], off
	s_waitcnt_vscnt null, 0x0
	global_atomic_cmpswap_b64 v[0:1], v7, v[0:3], s[2:3] offset:32 glc
	s_waitcnt vmcnt(0)
	v_cmp_eq_u64_e32 vcc_lo, v[0:1], v[2:3]
	v_dual_mov_b32 v3, v1 :: v_dual_mov_b32 v2, v0
	s_or_b32 s7, vcc_lo, s7
	s_delay_alu instid0(SALU_CYCLE_1)
	s_and_not1_b32 exec_lo, exec_lo, s7
	s_cbranch_execnz .LBB6_11
.LBB6_12:
	s_or_b32 exec_lo, exec_lo, s6
	v_mov_b32_e32 v3, 0
	s_mov_b32 s7, exec_lo
	s_mov_b32 s6, exec_lo
	v_mbcnt_lo_u32_b32 v2, s7, 0
	global_load_b64 v[0:1], v3, s[2:3] offset:16
	v_cmpx_eq_u32_e32 0, v2
	s_cbranch_execz .LBB6_14
; %bb.13:
	s_bcnt1_i32_b32 s7, s7
	s_delay_alu instid0(SALU_CYCLE_1)
	v_mov_b32_e32 v2, s7
	s_waitcnt vmcnt(0)
	global_atomic_add_u64 v[0:1], v[2:3], off offset:8
.LBB6_14:
	s_or_b32 exec_lo, exec_lo, s6
	s_waitcnt vmcnt(0)
	global_load_b64 v[2:3], v[0:1], off offset:16
	s_waitcnt vmcnt(0)
	v_cmp_eq_u64_e32 vcc_lo, 0, v[2:3]
	s_cbranch_vccnz .LBB6_16
; %bb.15:
	global_load_b32 v0, v[0:1], off offset:24
	s_waitcnt vmcnt(0)
	v_dual_mov_b32 v1, 0 :: v_dual_and_b32 v4, 0xffffff, v0
	s_waitcnt_vscnt null, 0x0
	global_store_b64 v[2:3], v[0:1], off
	v_readfirstlane_b32 m0, v4
	s_sendmsg sendmsg(MSG_INTERRUPT)
.LBB6_16:
	s_or_b32 exec_lo, exec_lo, s1
	s_branch .LBB6_20
	.p2align	6
.LBB6_17:                               ;   in Loop: Header=BB6_20 Depth=1
	s_or_b32 exec_lo, exec_lo, s1
	s_delay_alu instid0(VALU_DEP_1) | instskip(NEXT) | instid1(VALU_DEP_1)
	v_readfirstlane_b32 s1, v0
	s_cmp_eq_u32 s1, 0
	s_cbranch_scc1 .LBB6_19
; %bb.18:                               ;   in Loop: Header=BB6_20 Depth=1
	s_sleep 1
	s_cbranch_execnz .LBB6_20
	s_branch .LBB6_22
	.p2align	6
.LBB6_19:
	s_branch .LBB6_22
.LBB6_20:                               ; =>This Inner Loop Header: Depth=1
	v_mov_b32_e32 v0, 1
	s_and_saveexec_b32 s1, s0
	s_cbranch_execz .LBB6_17
; %bb.21:                               ;   in Loop: Header=BB6_20 Depth=1
	global_load_b32 v0, v[13:14], off offset:20 glc
	s_waitcnt vmcnt(0)
	buffer_gl1_inv
	buffer_gl0_inv
	v_and_b32_e32 v0, 1, v0
	s_branch .LBB6_17
.LBB6_22:
	s_and_saveexec_b32 s1, s0
	s_cbranch_execz .LBB6_26
; %bb.23:
	v_mov_b32_e32 v6, 0
	s_clause 0x2
	global_load_b64 v[2:3], v6, s[2:3] offset:40
	global_load_b64 v[7:8], v6, s[2:3] offset:24 glc
	global_load_b64 v[4:5], v6, s[2:3]
	s_waitcnt vmcnt(2)
	v_add_co_u32 v9, vcc_lo, v2, 1
	v_add_co_ci_u32_e32 v10, vcc_lo, 0, v3, vcc_lo
	s_delay_alu instid0(VALU_DEP_2) | instskip(NEXT) | instid1(VALU_DEP_2)
	v_add_co_u32 v0, vcc_lo, v9, s4
	v_add_co_ci_u32_e32 v1, vcc_lo, s5, v10, vcc_lo
	s_delay_alu instid0(VALU_DEP_1) | instskip(SKIP_1) | instid1(VALU_DEP_1)
	v_cmp_eq_u64_e32 vcc_lo, 0, v[0:1]
	v_dual_cndmask_b32 v1, v1, v10 :: v_dual_cndmask_b32 v0, v0, v9
	v_and_b32_e32 v3, v1, v3
	s_delay_alu instid0(VALU_DEP_2) | instskip(NEXT) | instid1(VALU_DEP_2)
	v_and_b32_e32 v2, v0, v2
	v_mul_lo_u32 v3, v3, 24
	s_delay_alu instid0(VALU_DEP_2) | instskip(SKIP_1) | instid1(VALU_DEP_2)
	v_mul_hi_u32 v9, v2, 24
	v_mul_lo_u32 v2, v2, 24
	v_add_nc_u32_e32 v3, v9, v3
	s_waitcnt vmcnt(0)
	s_delay_alu instid0(VALU_DEP_2) | instskip(SKIP_1) | instid1(VALU_DEP_3)
	v_add_co_u32 v4, vcc_lo, v4, v2
	v_mov_b32_e32 v2, v7
	v_add_co_ci_u32_e32 v5, vcc_lo, v5, v3, vcc_lo
	v_mov_b32_e32 v3, v8
	global_store_b64 v[4:5], v[7:8], off
	s_waitcnt_vscnt null, 0x0
	global_atomic_cmpswap_b64 v[2:3], v6, v[0:3], s[2:3] offset:24 glc
	s_waitcnt vmcnt(0)
	v_cmp_ne_u64_e32 vcc_lo, v[2:3], v[7:8]
	s_and_b32 exec_lo, exec_lo, vcc_lo
	s_cbranch_execz .LBB6_26
; %bb.24:
	s_mov_b32 s0, 0
.LBB6_25:                               ; =>This Inner Loop Header: Depth=1
	s_sleep 1
	global_store_b64 v[4:5], v[2:3], off
	s_waitcnt_vscnt null, 0x0
	global_atomic_cmpswap_b64 v[7:8], v6, v[0:3], s[2:3] offset:24 glc
	s_waitcnt vmcnt(0)
	v_cmp_eq_u64_e32 vcc_lo, v[7:8], v[2:3]
	v_dual_mov_b32 v2, v7 :: v_dual_mov_b32 v3, v8
	s_or_b32 s0, vcc_lo, s0
	s_delay_alu instid0(SALU_CYCLE_1)
	s_and_not1_b32 exec_lo, exec_lo, s0
	s_cbranch_execnz .LBB6_25
.LBB6_26:
	s_or_b32 exec_lo, exec_lo, s1
	s_waitcnt lgkmcnt(0)
	s_setpc_b64 s[30:31]
.Lfunc_end6:
	.size	__ockl_printf_append_args, .Lfunc_end6-__ockl_printf_append_args
                                        ; -- End function
	.section	.AMDGPU.csdata,"",@progbits
; Function info:
; codeLenInByte = 1352
; NumSgprs: 34
; NumVgprs: 16
; ScratchSize: 0
; MemoryBound: 0
	.text
	.p2align	2                               ; -- Begin function _ZL14no_device_codePKciS0_iS0_
	.type	_ZL14no_device_codePKciS0_iS0_,@function
_ZL14no_device_codePKciS0_iS0_:         ; @_ZL14no_device_codePKciS0_iS0_
; %bb.0:
	s_waitcnt vmcnt(0) expcnt(0) lgkmcnt(0)
	s_mov_b32 s20, s33
	s_mov_b32 s33, s32
	s_xor_saveexec_b32 s0, -1
	scratch_store_b32 off, v36, s33         ; 4-byte Folded Spill
	s_mov_b32 exec_lo, s0
	v_writelane_b32 v36, s30, 0
	s_add_i32 s32, s32, 16
	v_writelane_b32 v36, s31, 1
	s_load_b64 s[2:3], s[8:9], 0x50
	v_mbcnt_lo_u32_b32 v32, -1, 0
	v_mov_b32_e32 v6, 0
	v_mov_b32_e32 v7, 0
	s_delay_alu instid0(VALU_DEP_3) | instskip(NEXT) | instid1(VALU_DEP_1)
	v_readfirstlane_b32 s0, v32
	v_cmp_eq_u32_e64 s0, s0, v32
	s_delay_alu instid0(VALU_DEP_1)
	s_and_saveexec_b32 s1, s0
	s_cbranch_execz .LBB7_6
; %bb.1:
	v_mov_b32_e32 v0, 0
	s_mov_b32 s4, exec_lo
	s_waitcnt lgkmcnt(0)
	global_load_b64 v[3:4], v0, s[2:3] offset:24 glc
	s_waitcnt vmcnt(0)
	buffer_gl1_inv
	buffer_gl0_inv
	s_clause 0x1
	global_load_b64 v[1:2], v0, s[2:3] offset:40
	global_load_b64 v[5:6], v0, s[2:3]
	s_waitcnt vmcnt(1)
	v_and_b32_e32 v1, v1, v3
	v_and_b32_e32 v2, v2, v4
	s_delay_alu instid0(VALU_DEP_2) | instskip(NEXT) | instid1(VALU_DEP_2)
	v_mul_hi_u32 v7, v1, 24
	v_mul_lo_u32 v2, v2, 24
	v_mul_lo_u32 v1, v1, 24
	s_delay_alu instid0(VALU_DEP_2) | instskip(SKIP_1) | instid1(VALU_DEP_2)
	v_add_nc_u32_e32 v2, v7, v2
	s_waitcnt vmcnt(0)
	v_add_co_u32 v1, vcc_lo, v5, v1
	s_delay_alu instid0(VALU_DEP_2)
	v_add_co_ci_u32_e32 v2, vcc_lo, v6, v2, vcc_lo
	global_load_b64 v[1:2], v[1:2], off glc
	s_waitcnt vmcnt(0)
	global_atomic_cmpswap_b64 v[6:7], v0, v[1:4], s[2:3] offset:24 glc
	s_waitcnt vmcnt(0)
	buffer_gl1_inv
	buffer_gl0_inv
	v_cmpx_ne_u64_e64 v[6:7], v[3:4]
	s_cbranch_execz .LBB7_5
; %bb.2:
	s_mov_b32 s5, 0
	.p2align	6
.LBB7_3:                                ; =>This Inner Loop Header: Depth=1
	s_sleep 1
	s_clause 0x1
	global_load_b64 v[1:2], v0, s[2:3] offset:40
	global_load_b64 v[8:9], v0, s[2:3]
	v_dual_mov_b32 v3, v6 :: v_dual_mov_b32 v4, v7
	s_waitcnt vmcnt(1)
	s_delay_alu instid0(VALU_DEP_1) | instskip(NEXT) | instid1(VALU_DEP_2)
	v_and_b32_e32 v1, v1, v3
	v_and_b32_e32 v2, v2, v4
	s_waitcnt vmcnt(0)
	s_delay_alu instid0(VALU_DEP_2) | instskip(NEXT) | instid1(VALU_DEP_1)
	v_mad_u64_u32 v[5:6], null, v1, 24, v[8:9]
	v_mov_b32_e32 v1, v6
	s_delay_alu instid0(VALU_DEP_1)
	v_mad_u64_u32 v[6:7], null, v2, 24, v[1:2]
	global_load_b64 v[1:2], v[5:6], off glc
	s_waitcnt vmcnt(0)
	global_atomic_cmpswap_b64 v[6:7], v0, v[1:4], s[2:3] offset:24 glc
	s_waitcnt vmcnt(0)
	buffer_gl1_inv
	buffer_gl0_inv
	v_cmp_eq_u64_e32 vcc_lo, v[6:7], v[3:4]
	s_or_b32 s5, vcc_lo, s5
	s_delay_alu instid0(SALU_CYCLE_1)
	s_and_not1_b32 exec_lo, exec_lo, s5
	s_cbranch_execnz .LBB7_3
; %bb.4:
	s_or_b32 exec_lo, exec_lo, s5
.LBB7_5:
	s_delay_alu instid0(SALU_CYCLE_1)
	s_or_b32 exec_lo, exec_lo, s4
.LBB7_6:
	s_delay_alu instid0(SALU_CYCLE_1)
	s_or_b32 exec_lo, exec_lo, s1
	v_mov_b32_e32 v5, 0
	v_readfirstlane_b32 s4, v6
	v_readfirstlane_b32 s5, v7
	s_mov_b32 s1, exec_lo
	s_waitcnt lgkmcnt(0)
	s_clause 0x1
	global_load_b64 v[8:9], v5, s[2:3] offset:40
	global_load_b128 v[0:3], v5, s[2:3]
	s_waitcnt vmcnt(1)
	v_readfirstlane_b32 s6, v8
	v_readfirstlane_b32 s7, v9
	s_delay_alu instid0(VALU_DEP_1) | instskip(NEXT) | instid1(SALU_CYCLE_1)
	s_and_b64 s[6:7], s[4:5], s[6:7]
	s_mul_i32 s10, s7, 24
	s_mul_hi_u32 s11, s6, 24
	s_mul_i32 s12, s6, 24
	s_add_i32 s11, s11, s10
	s_waitcnt vmcnt(0)
	v_add_co_u32 v8, vcc_lo, v0, s12
	v_add_co_ci_u32_e32 v9, vcc_lo, s11, v1, vcc_lo
	s_and_saveexec_b32 s10, s0
	s_cbranch_execz .LBB7_8
; %bb.7:
	v_dual_mov_b32 v4, s1 :: v_dual_mov_b32 v7, 1
	v_mov_b32_e32 v6, 2
	global_store_b128 v[8:9], v[4:7], off offset:8
.LBB7_8:
	s_or_b32 exec_lo, exec_lo, s10
	s_lshl_b64 s[6:7], s[6:7], 12
	v_dual_mov_b32 v4, 33 :: v_dual_lshlrev_b32 v31, 6, v32
	v_add_co_u32 v2, vcc_lo, v2, s6
	v_add_co_ci_u32_e32 v3, vcc_lo, s7, v3, vcc_lo
	s_mov_b32 s12, 0
	s_delay_alu instid0(VALU_DEP_2)
	v_add_co_u32 v10, vcc_lo, v2, v31
	s_mov_b32 s13, s12
	s_mov_b32 s14, s12
	;; [unrolled: 1-line block ×3, first 2 shown]
	v_mov_b32_e32 v6, v5
	v_dual_mov_b32 v7, v5 :: v_dual_mov_b32 v12, s12
	v_readfirstlane_b32 s6, v2
	v_readfirstlane_b32 s7, v3
	v_add_co_ci_u32_e32 v11, vcc_lo, 0, v3, vcc_lo
	v_dual_mov_b32 v13, s13 :: v_dual_mov_b32 v14, s14
	v_mov_b32_e32 v15, s15
	s_clause 0x3
	global_store_b128 v31, v[4:7], s[6:7]
	global_store_b128 v31, v[12:15], s[6:7] offset:16
	global_store_b128 v31, v[12:15], s[6:7] offset:32
	;; [unrolled: 1-line block ×3, first 2 shown]
	s_and_saveexec_b32 s1, s0
	s_cbranch_execz .LBB7_16
; %bb.9:
	v_mov_b32_e32 v6, 0
	s_mov_b32 s6, exec_lo
	s_clause 0x1
	global_load_b64 v[14:15], v6, s[2:3] offset:32 glc
	global_load_b64 v[2:3], v6, s[2:3] offset:40
	v_dual_mov_b32 v13, s5 :: v_dual_mov_b32 v12, s4
	s_waitcnt vmcnt(0)
	v_and_b32_e32 v3, s5, v3
	v_and_b32_e32 v2, s4, v2
	s_delay_alu instid0(VALU_DEP_2) | instskip(NEXT) | instid1(VALU_DEP_2)
	v_mul_lo_u32 v3, v3, 24
	v_mul_hi_u32 v4, v2, 24
	v_mul_lo_u32 v2, v2, 24
	s_delay_alu instid0(VALU_DEP_2) | instskip(NEXT) | instid1(VALU_DEP_2)
	v_add_nc_u32_e32 v3, v4, v3
	v_add_co_u32 v4, vcc_lo, v0, v2
	s_delay_alu instid0(VALU_DEP_2)
	v_add_co_ci_u32_e32 v5, vcc_lo, v1, v3, vcc_lo
	global_store_b64 v[4:5], v[14:15], off
	s_waitcnt_vscnt null, 0x0
	global_atomic_cmpswap_b64 v[2:3], v6, v[12:15], s[2:3] offset:32 glc
	s_waitcnt vmcnt(0)
	v_cmpx_ne_u64_e64 v[2:3], v[14:15]
	s_cbranch_execz .LBB7_12
; %bb.10:
	s_mov_b32 s7, 0
.LBB7_11:                               ; =>This Inner Loop Header: Depth=1
	v_dual_mov_b32 v0, s4 :: v_dual_mov_b32 v1, s5
	s_sleep 1
	global_store_b64 v[4:5], v[2:3], off
	s_waitcnt_vscnt null, 0x0
	global_atomic_cmpswap_b64 v[0:1], v6, v[0:3], s[2:3] offset:32 glc
	s_waitcnt vmcnt(0)
	v_cmp_eq_u64_e32 vcc_lo, v[0:1], v[2:3]
	v_dual_mov_b32 v3, v1 :: v_dual_mov_b32 v2, v0
	s_or_b32 s7, vcc_lo, s7
	s_delay_alu instid0(SALU_CYCLE_1)
	s_and_not1_b32 exec_lo, exec_lo, s7
	s_cbranch_execnz .LBB7_11
.LBB7_12:
	s_or_b32 exec_lo, exec_lo, s6
	v_mov_b32_e32 v3, 0
	s_mov_b32 s7, exec_lo
	s_mov_b32 s6, exec_lo
	v_mbcnt_lo_u32_b32 v2, s7, 0
	global_load_b64 v[0:1], v3, s[2:3] offset:16
	v_cmpx_eq_u32_e32 0, v2
	s_cbranch_execz .LBB7_14
; %bb.13:
	s_bcnt1_i32_b32 s7, s7
	s_delay_alu instid0(SALU_CYCLE_1)
	v_mov_b32_e32 v2, s7
	s_waitcnt vmcnt(0)
	global_atomic_add_u64 v[0:1], v[2:3], off offset:8
.LBB7_14:
	s_or_b32 exec_lo, exec_lo, s6
	s_waitcnt vmcnt(0)
	global_load_b64 v[2:3], v[0:1], off offset:16
	s_waitcnt vmcnt(0)
	v_cmp_eq_u64_e32 vcc_lo, 0, v[2:3]
	s_cbranch_vccnz .LBB7_16
; %bb.15:
	global_load_b32 v0, v[0:1], off offset:24
	s_waitcnt vmcnt(0)
	v_dual_mov_b32 v1, 0 :: v_dual_and_b32 v4, 0xffffff, v0
	s_waitcnt_vscnt null, 0x0
	global_store_b64 v[2:3], v[0:1], off
	v_readfirstlane_b32 m0, v4
	s_sendmsg sendmsg(MSG_INTERRUPT)
.LBB7_16:
	s_or_b32 exec_lo, exec_lo, s1
	s_branch .LBB7_20
	.p2align	6
.LBB7_17:                               ;   in Loop: Header=BB7_20 Depth=1
	s_or_b32 exec_lo, exec_lo, s1
	s_delay_alu instid0(VALU_DEP_1) | instskip(NEXT) | instid1(VALU_DEP_1)
	v_readfirstlane_b32 s1, v0
	s_cmp_eq_u32 s1, 0
	s_cbranch_scc1 .LBB7_19
; %bb.18:                               ;   in Loop: Header=BB7_20 Depth=1
	s_sleep 1
	s_cbranch_execnz .LBB7_20
	s_branch .LBB7_22
	.p2align	6
.LBB7_19:
	s_branch .LBB7_22
.LBB7_20:                               ; =>This Inner Loop Header: Depth=1
	v_mov_b32_e32 v0, 1
	s_and_saveexec_b32 s1, s0
	s_cbranch_execz .LBB7_17
; %bb.21:                               ;   in Loop: Header=BB7_20 Depth=1
	global_load_b32 v0, v[8:9], off offset:20 glc
	s_waitcnt vmcnt(0)
	buffer_gl1_inv
	buffer_gl0_inv
	v_and_b32_e32 v0, 1, v0
	s_branch .LBB7_17
.LBB7_22:
	global_load_b64 v[4:5], v[10:11], off
	s_and_saveexec_b32 s1, s0
	s_cbranch_execz .LBB7_26
; %bb.23:
	v_mov_b32_e32 v8, 0
	s_clause 0x2
	global_load_b64 v[2:3], v8, s[2:3] offset:40
	global_load_b64 v[9:10], v8, s[2:3] offset:24 glc
	global_load_b64 v[6:7], v8, s[2:3]
	s_waitcnt vmcnt(2)
	v_add_co_u32 v11, vcc_lo, v2, 1
	v_add_co_ci_u32_e32 v12, vcc_lo, 0, v3, vcc_lo
	s_delay_alu instid0(VALU_DEP_2) | instskip(NEXT) | instid1(VALU_DEP_2)
	v_add_co_u32 v0, vcc_lo, v11, s4
	v_add_co_ci_u32_e32 v1, vcc_lo, s5, v12, vcc_lo
	s_delay_alu instid0(VALU_DEP_1) | instskip(SKIP_1) | instid1(VALU_DEP_1)
	v_cmp_eq_u64_e32 vcc_lo, 0, v[0:1]
	v_dual_cndmask_b32 v1, v1, v12 :: v_dual_cndmask_b32 v0, v0, v11
	v_and_b32_e32 v3, v1, v3
	s_delay_alu instid0(VALU_DEP_2) | instskip(NEXT) | instid1(VALU_DEP_2)
	v_and_b32_e32 v2, v0, v2
	v_mul_lo_u32 v3, v3, 24
	s_delay_alu instid0(VALU_DEP_2) | instskip(SKIP_1) | instid1(VALU_DEP_2)
	v_mul_hi_u32 v11, v2, 24
	v_mul_lo_u32 v2, v2, 24
	v_add_nc_u32_e32 v3, v11, v3
	s_waitcnt vmcnt(0)
	s_delay_alu instid0(VALU_DEP_2) | instskip(SKIP_1) | instid1(VALU_DEP_3)
	v_add_co_u32 v6, vcc_lo, v6, v2
	v_mov_b32_e32 v2, v9
	v_add_co_ci_u32_e32 v7, vcc_lo, v7, v3, vcc_lo
	v_mov_b32_e32 v3, v10
	global_store_b64 v[6:7], v[9:10], off
	s_waitcnt_vscnt null, 0x0
	global_atomic_cmpswap_b64 v[2:3], v8, v[0:3], s[2:3] offset:24 glc
	s_waitcnt vmcnt(0)
	v_cmp_ne_u64_e32 vcc_lo, v[2:3], v[9:10]
	s_and_b32 exec_lo, exec_lo, vcc_lo
	s_cbranch_execz .LBB7_26
; %bb.24:
	s_mov_b32 s0, 0
.LBB7_25:                               ; =>This Inner Loop Header: Depth=1
	s_sleep 1
	global_store_b64 v[6:7], v[2:3], off
	s_waitcnt_vscnt null, 0x0
	global_atomic_cmpswap_b64 v[9:10], v8, v[0:3], s[2:3] offset:24 glc
	s_waitcnt vmcnt(0)
	v_cmp_eq_u64_e32 vcc_lo, v[9:10], v[2:3]
	v_dual_mov_b32 v2, v9 :: v_dual_mov_b32 v3, v10
	s_or_b32 s0, vcc_lo, s0
	s_delay_alu instid0(SALU_CYCLE_1)
	s_and_not1_b32 exec_lo, exec_lo, s0
	s_cbranch_execnz .LBB7_25
.LBB7_26:
	s_or_b32 exec_lo, exec_lo, s1
	s_getpc_b64 s[4:5]
	s_add_u32 s4, s4, .str.3@rel32@lo+4
	s_addc_u32 s5, s5, .str.3@rel32@hi+12
	s_delay_alu instid0(SALU_CYCLE_1)
	s_cmp_lg_u64 s[4:5], 0
	s_cbranch_scc0 .LBB7_104
; %bb.27:
	s_waitcnt vmcnt(0)
	v_dual_mov_b32 v7, 0 :: v_dual_and_b32 v28, 2, v4
	v_dual_mov_b32 v1, v5 :: v_dual_and_b32 v0, -3, v4
	v_dual_mov_b32 v8, 2 :: v_dual_mov_b32 v9, 1
	s_mov_b64 s[6:7], 0x4d
	s_branch .LBB7_29
.LBB7_28:                               ;   in Loop: Header=BB7_29 Depth=1
	s_or_b32 exec_lo, exec_lo, s1
	s_sub_u32 s6, s6, s10
	s_subb_u32 s7, s7, s11
	s_add_u32 s4, s4, s10
	s_addc_u32 s5, s5, s11
	s_cmp_lg_u64 s[6:7], 0
	s_cbranch_scc0 .LBB7_105
.LBB7_29:                               ; =>This Loop Header: Depth=1
                                        ;     Child Loop BB7_38 Depth 2
                                        ;     Child Loop BB7_34 Depth 2
	;; [unrolled: 1-line block ×11, first 2 shown]
	v_cmp_lt_u64_e64 s0, s[6:7], 56
	v_cmp_gt_u64_e64 s1, s[6:7], 7
                                        ; implicit-def: $vgpr2_vgpr3
                                        ; implicit-def: $sgpr16
	s_delay_alu instid0(VALU_DEP_2) | instskip(SKIP_2) | instid1(VALU_DEP_1)
	s_and_b32 s0, s0, exec_lo
	s_cselect_b32 s11, s7, 0
	s_cselect_b32 s10, s6, 56
	s_and_b32 vcc_lo, exec_lo, s1
	s_mov_b32 s0, -1
	s_cbranch_vccz .LBB7_36
; %bb.30:                               ;   in Loop: Header=BB7_29 Depth=1
	s_and_not1_b32 vcc_lo, exec_lo, s0
	s_mov_b64 s[0:1], s[4:5]
	s_cbranch_vccz .LBB7_40
.LBB7_31:                               ;   in Loop: Header=BB7_29 Depth=1
	s_cmp_gt_u32 s16, 7
	s_cbranch_scc1 .LBB7_41
.LBB7_32:                               ;   in Loop: Header=BB7_29 Depth=1
	v_mov_b32_e32 v10, 0
	v_mov_b32_e32 v11, 0
	s_cmp_eq_u32 s16, 0
	s_cbranch_scc1 .LBB7_35
; %bb.33:                               ;   in Loop: Header=BB7_29 Depth=1
	s_mov_b64 s[12:13], 0
	s_mov_b64 s[14:15], 0
.LBB7_34:                               ;   Parent Loop BB7_29 Depth=1
                                        ; =>  This Inner Loop Header: Depth=2
	s_delay_alu instid0(SALU_CYCLE_1)
	s_add_u32 s18, s0, s14
	s_addc_u32 s19, s1, s15
	s_add_u32 s14, s14, 1
	global_load_u8 v6, v7, s[18:19]
	s_addc_u32 s15, s15, 0
	s_waitcnt vmcnt(0)
	v_and_b32_e32 v6, 0xffff, v6
	s_delay_alu instid0(VALU_DEP_1) | instskip(SKIP_3) | instid1(VALU_DEP_1)
	v_lshlrev_b64 v[12:13], s12, v[6:7]
	s_add_u32 s12, s12, 8
	s_addc_u32 s13, s13, 0
	s_cmp_lg_u32 s16, s14
	v_or_b32_e32 v10, v12, v10
	s_delay_alu instid0(VALU_DEP_2)
	v_or_b32_e32 v11, v13, v11
	s_cbranch_scc1 .LBB7_34
.LBB7_35:                               ;   in Loop: Header=BB7_29 Depth=1
	s_mov_b32 s17, 0
	s_cbranch_execz .LBB7_42
	s_branch .LBB7_43
.LBB7_36:                               ;   in Loop: Header=BB7_29 Depth=1
	s_waitcnt vmcnt(0)
	v_mov_b32_e32 v2, 0
	v_mov_b32_e32 v3, 0
	s_cmp_eq_u64 s[6:7], 0
	s_mov_b64 s[0:1], 0
	s_cbranch_scc1 .LBB7_39
; %bb.37:                               ;   in Loop: Header=BB7_29 Depth=1
	v_mov_b32_e32 v2, 0
	v_mov_b32_e32 v3, 0
	s_lshl_b64 s[12:13], s[10:11], 3
	s_mov_b64 s[14:15], s[4:5]
.LBB7_38:                               ;   Parent Loop BB7_29 Depth=1
                                        ; =>  This Inner Loop Header: Depth=2
	global_load_u8 v6, v7, s[14:15]
	s_waitcnt vmcnt(0)
	v_and_b32_e32 v6, 0xffff, v6
	s_delay_alu instid0(VALU_DEP_1)
	v_lshlrev_b64 v[10:11], s0, v[6:7]
	s_add_u32 s0, s0, 8
	s_addc_u32 s1, s1, 0
	s_add_u32 s14, s14, 1
	s_addc_u32 s15, s15, 0
	s_cmp_lg_u32 s12, s0
	v_or_b32_e32 v2, v10, v2
	v_or_b32_e32 v3, v11, v3
	s_cbranch_scc1 .LBB7_38
.LBB7_39:                               ;   in Loop: Header=BB7_29 Depth=1
	s_mov_b32 s16, 0
	s_mov_b64 s[0:1], s[4:5]
	s_cbranch_execnz .LBB7_31
.LBB7_40:                               ;   in Loop: Header=BB7_29 Depth=1
	global_load_b64 v[2:3], v7, s[4:5]
	s_add_i32 s16, s10, -8
	s_add_u32 s0, s4, 8
	s_addc_u32 s1, s5, 0
	s_cmp_gt_u32 s16, 7
	s_cbranch_scc0 .LBB7_32
.LBB7_41:                               ;   in Loop: Header=BB7_29 Depth=1
                                        ; implicit-def: $vgpr10_vgpr11
                                        ; implicit-def: $sgpr17
.LBB7_42:                               ;   in Loop: Header=BB7_29 Depth=1
	global_load_b64 v[10:11], v7, s[0:1]
	s_add_i32 s17, s16, -8
	s_add_u32 s0, s0, 8
	s_addc_u32 s1, s1, 0
.LBB7_43:                               ;   in Loop: Header=BB7_29 Depth=1
	s_cmp_gt_u32 s17, 7
	s_cbranch_scc1 .LBB7_48
; %bb.44:                               ;   in Loop: Header=BB7_29 Depth=1
	v_mov_b32_e32 v12, 0
	v_mov_b32_e32 v13, 0
	s_cmp_eq_u32 s17, 0
	s_cbranch_scc1 .LBB7_47
; %bb.45:                               ;   in Loop: Header=BB7_29 Depth=1
	s_mov_b64 s[12:13], 0
	s_mov_b64 s[14:15], 0
.LBB7_46:                               ;   Parent Loop BB7_29 Depth=1
                                        ; =>  This Inner Loop Header: Depth=2
	s_delay_alu instid0(SALU_CYCLE_1)
	s_add_u32 s18, s0, s14
	s_addc_u32 s19, s1, s15
	s_add_u32 s14, s14, 1
	global_load_u8 v6, v7, s[18:19]
	s_addc_u32 s15, s15, 0
	s_waitcnt vmcnt(0)
	v_and_b32_e32 v6, 0xffff, v6
	s_delay_alu instid0(VALU_DEP_1) | instskip(SKIP_3) | instid1(VALU_DEP_1)
	v_lshlrev_b64 v[14:15], s12, v[6:7]
	s_add_u32 s12, s12, 8
	s_addc_u32 s13, s13, 0
	s_cmp_lg_u32 s17, s14
	v_or_b32_e32 v12, v14, v12
	s_delay_alu instid0(VALU_DEP_2)
	v_or_b32_e32 v13, v15, v13
	s_cbranch_scc1 .LBB7_46
.LBB7_47:                               ;   in Loop: Header=BB7_29 Depth=1
	s_mov_b32 s16, 0
	s_cbranch_execz .LBB7_49
	s_branch .LBB7_50
.LBB7_48:                               ;   in Loop: Header=BB7_29 Depth=1
                                        ; implicit-def: $sgpr16
.LBB7_49:                               ;   in Loop: Header=BB7_29 Depth=1
	global_load_b64 v[12:13], v7, s[0:1]
	s_add_i32 s16, s17, -8
	s_add_u32 s0, s0, 8
	s_addc_u32 s1, s1, 0
.LBB7_50:                               ;   in Loop: Header=BB7_29 Depth=1
	s_cmp_gt_u32 s16, 7
	s_cbranch_scc1 .LBB7_55
; %bb.51:                               ;   in Loop: Header=BB7_29 Depth=1
	v_mov_b32_e32 v14, 0
	v_mov_b32_e32 v15, 0
	s_cmp_eq_u32 s16, 0
	s_cbranch_scc1 .LBB7_54
; %bb.52:                               ;   in Loop: Header=BB7_29 Depth=1
	s_mov_b64 s[12:13], 0
	s_mov_b64 s[14:15], 0
.LBB7_53:                               ;   Parent Loop BB7_29 Depth=1
                                        ; =>  This Inner Loop Header: Depth=2
	s_delay_alu instid0(SALU_CYCLE_1)
	s_add_u32 s18, s0, s14
	s_addc_u32 s19, s1, s15
	s_add_u32 s14, s14, 1
	global_load_u8 v6, v7, s[18:19]
	s_addc_u32 s15, s15, 0
	s_waitcnt vmcnt(0)
	v_and_b32_e32 v6, 0xffff, v6
	s_delay_alu instid0(VALU_DEP_1) | instskip(SKIP_3) | instid1(VALU_DEP_1)
	v_lshlrev_b64 v[16:17], s12, v[6:7]
	s_add_u32 s12, s12, 8
	s_addc_u32 s13, s13, 0
	s_cmp_lg_u32 s16, s14
	v_or_b32_e32 v14, v16, v14
	s_delay_alu instid0(VALU_DEP_2)
	v_or_b32_e32 v15, v17, v15
	s_cbranch_scc1 .LBB7_53
.LBB7_54:                               ;   in Loop: Header=BB7_29 Depth=1
	s_mov_b32 s17, 0
	s_cbranch_execz .LBB7_56
	s_branch .LBB7_57
.LBB7_55:                               ;   in Loop: Header=BB7_29 Depth=1
                                        ; implicit-def: $vgpr14_vgpr15
                                        ; implicit-def: $sgpr17
.LBB7_56:                               ;   in Loop: Header=BB7_29 Depth=1
	global_load_b64 v[14:15], v7, s[0:1]
	s_add_i32 s17, s16, -8
	s_add_u32 s0, s0, 8
	s_addc_u32 s1, s1, 0
.LBB7_57:                               ;   in Loop: Header=BB7_29 Depth=1
	s_cmp_gt_u32 s17, 7
	s_cbranch_scc1 .LBB7_62
; %bb.58:                               ;   in Loop: Header=BB7_29 Depth=1
	v_mov_b32_e32 v16, 0
	v_mov_b32_e32 v17, 0
	s_cmp_eq_u32 s17, 0
	s_cbranch_scc1 .LBB7_61
; %bb.59:                               ;   in Loop: Header=BB7_29 Depth=1
	s_mov_b64 s[12:13], 0
	s_mov_b64 s[14:15], 0
.LBB7_60:                               ;   Parent Loop BB7_29 Depth=1
                                        ; =>  This Inner Loop Header: Depth=2
	s_delay_alu instid0(SALU_CYCLE_1)
	s_add_u32 s18, s0, s14
	s_addc_u32 s19, s1, s15
	s_add_u32 s14, s14, 1
	global_load_u8 v6, v7, s[18:19]
	s_addc_u32 s15, s15, 0
	s_waitcnt vmcnt(0)
	v_and_b32_e32 v6, 0xffff, v6
	s_delay_alu instid0(VALU_DEP_1) | instskip(SKIP_3) | instid1(VALU_DEP_1)
	v_lshlrev_b64 v[18:19], s12, v[6:7]
	s_add_u32 s12, s12, 8
	s_addc_u32 s13, s13, 0
	s_cmp_lg_u32 s17, s14
	v_or_b32_e32 v16, v18, v16
	s_delay_alu instid0(VALU_DEP_2)
	v_or_b32_e32 v17, v19, v17
	s_cbranch_scc1 .LBB7_60
.LBB7_61:                               ;   in Loop: Header=BB7_29 Depth=1
	s_mov_b32 s16, 0
	s_cbranch_execz .LBB7_63
	s_branch .LBB7_64
.LBB7_62:                               ;   in Loop: Header=BB7_29 Depth=1
                                        ; implicit-def: $sgpr16
.LBB7_63:                               ;   in Loop: Header=BB7_29 Depth=1
	global_load_b64 v[16:17], v7, s[0:1]
	s_add_i32 s16, s17, -8
	s_add_u32 s0, s0, 8
	s_addc_u32 s1, s1, 0
.LBB7_64:                               ;   in Loop: Header=BB7_29 Depth=1
	s_cmp_gt_u32 s16, 7
	s_cbranch_scc1 .LBB7_69
; %bb.65:                               ;   in Loop: Header=BB7_29 Depth=1
	v_mov_b32_e32 v18, 0
	v_mov_b32_e32 v19, 0
	s_cmp_eq_u32 s16, 0
	s_cbranch_scc1 .LBB7_68
; %bb.66:                               ;   in Loop: Header=BB7_29 Depth=1
	s_mov_b64 s[12:13], 0
	s_mov_b64 s[14:15], 0
.LBB7_67:                               ;   Parent Loop BB7_29 Depth=1
                                        ; =>  This Inner Loop Header: Depth=2
	s_delay_alu instid0(SALU_CYCLE_1)
	s_add_u32 s18, s0, s14
	s_addc_u32 s19, s1, s15
	s_add_u32 s14, s14, 1
	global_load_u8 v6, v7, s[18:19]
	s_addc_u32 s15, s15, 0
	s_waitcnt vmcnt(0)
	v_and_b32_e32 v6, 0xffff, v6
	s_delay_alu instid0(VALU_DEP_1) | instskip(SKIP_3) | instid1(VALU_DEP_1)
	v_lshlrev_b64 v[20:21], s12, v[6:7]
	s_add_u32 s12, s12, 8
	s_addc_u32 s13, s13, 0
	s_cmp_lg_u32 s16, s14
	v_or_b32_e32 v18, v20, v18
	s_delay_alu instid0(VALU_DEP_2)
	v_or_b32_e32 v19, v21, v19
	s_cbranch_scc1 .LBB7_67
.LBB7_68:                               ;   in Loop: Header=BB7_29 Depth=1
	s_mov_b32 s17, 0
	s_cbranch_execz .LBB7_70
	s_branch .LBB7_71
.LBB7_69:                               ;   in Loop: Header=BB7_29 Depth=1
                                        ; implicit-def: $vgpr18_vgpr19
                                        ; implicit-def: $sgpr17
.LBB7_70:                               ;   in Loop: Header=BB7_29 Depth=1
	global_load_b64 v[18:19], v7, s[0:1]
	s_add_i32 s17, s16, -8
	s_add_u32 s0, s0, 8
	s_addc_u32 s1, s1, 0
.LBB7_71:                               ;   in Loop: Header=BB7_29 Depth=1
	s_cmp_gt_u32 s17, 7
	s_cbranch_scc1 .LBB7_76
; %bb.72:                               ;   in Loop: Header=BB7_29 Depth=1
	v_mov_b32_e32 v20, 0
	v_mov_b32_e32 v21, 0
	s_cmp_eq_u32 s17, 0
	s_cbranch_scc1 .LBB7_75
; %bb.73:                               ;   in Loop: Header=BB7_29 Depth=1
	s_mov_b64 s[12:13], 0
	s_mov_b64 s[14:15], s[0:1]
.LBB7_74:                               ;   Parent Loop BB7_29 Depth=1
                                        ; =>  This Inner Loop Header: Depth=2
	global_load_u8 v6, v7, s[14:15]
	s_add_i32 s17, s17, -1
	s_waitcnt vmcnt(0)
	v_and_b32_e32 v6, 0xffff, v6
	s_delay_alu instid0(VALU_DEP_1)
	v_lshlrev_b64 v[22:23], s12, v[6:7]
	s_add_u32 s12, s12, 8
	s_addc_u32 s13, s13, 0
	s_add_u32 s14, s14, 1
	s_addc_u32 s15, s15, 0
	s_cmp_lg_u32 s17, 0
	v_or_b32_e32 v20, v22, v20
	v_or_b32_e32 v21, v23, v21
	s_cbranch_scc1 .LBB7_74
.LBB7_75:                               ;   in Loop: Header=BB7_29 Depth=1
	s_cbranch_execz .LBB7_77
	s_branch .LBB7_78
.LBB7_76:                               ;   in Loop: Header=BB7_29 Depth=1
.LBB7_77:                               ;   in Loop: Header=BB7_29 Depth=1
	global_load_b64 v[20:21], v7, s[0:1]
.LBB7_78:                               ;   in Loop: Header=BB7_29 Depth=1
	v_readfirstlane_b32 s0, v32
	v_mov_b32_e32 v26, 0
	v_mov_b32_e32 v27, 0
	s_delay_alu instid0(VALU_DEP_3) | instskip(NEXT) | instid1(VALU_DEP_1)
	v_cmp_eq_u32_e64 s0, s0, v32
	s_and_saveexec_b32 s1, s0
	s_cbranch_execz .LBB7_84
; %bb.79:                               ;   in Loop: Header=BB7_29 Depth=1
	global_load_b64 v[24:25], v7, s[2:3] offset:24 glc
	s_waitcnt vmcnt(0)
	buffer_gl1_inv
	buffer_gl0_inv
	s_clause 0x1
	global_load_b64 v[22:23], v7, s[2:3] offset:40
	global_load_b64 v[26:27], v7, s[2:3]
	s_mov_b32 s12, exec_lo
	s_waitcnt vmcnt(1)
	v_and_b32_e32 v6, v23, v25
	v_and_b32_e32 v22, v22, v24
	s_delay_alu instid0(VALU_DEP_2) | instskip(NEXT) | instid1(VALU_DEP_2)
	v_mul_lo_u32 v6, v6, 24
	v_mul_hi_u32 v23, v22, 24
	v_mul_lo_u32 v22, v22, 24
	s_delay_alu instid0(VALU_DEP_2) | instskip(SKIP_1) | instid1(VALU_DEP_2)
	v_add_nc_u32_e32 v6, v23, v6
	s_waitcnt vmcnt(0)
	v_add_co_u32 v22, vcc_lo, v26, v22
	s_delay_alu instid0(VALU_DEP_2)
	v_add_co_ci_u32_e32 v23, vcc_lo, v27, v6, vcc_lo
	global_load_b64 v[22:23], v[22:23], off glc
	s_waitcnt vmcnt(0)
	global_atomic_cmpswap_b64 v[26:27], v7, v[22:25], s[2:3] offset:24 glc
	s_waitcnt vmcnt(0)
	buffer_gl1_inv
	buffer_gl0_inv
	v_cmpx_ne_u64_e64 v[26:27], v[24:25]
	s_cbranch_execz .LBB7_83
; %bb.80:                               ;   in Loop: Header=BB7_29 Depth=1
	s_mov_b32 s13, 0
	.p2align	6
.LBB7_81:                               ;   Parent Loop BB7_29 Depth=1
                                        ; =>  This Inner Loop Header: Depth=2
	s_sleep 1
	s_clause 0x1
	global_load_b64 v[22:23], v7, s[2:3] offset:40
	global_load_b64 v[29:30], v7, s[2:3]
	v_dual_mov_b32 v24, v26 :: v_dual_mov_b32 v25, v27
	s_waitcnt vmcnt(1)
	s_delay_alu instid0(VALU_DEP_1) | instskip(SKIP_1) | instid1(VALU_DEP_1)
	v_and_b32_e32 v6, v22, v24
	s_waitcnt vmcnt(0)
	v_mad_u64_u32 v[26:27], null, v6, 24, v[29:30]
	v_and_b32_e32 v29, v23, v25
	s_delay_alu instid0(VALU_DEP_2) | instskip(NEXT) | instid1(VALU_DEP_1)
	v_mov_b32_e32 v6, v27
	v_mad_u64_u32 v[22:23], null, v29, 24, v[6:7]
	s_delay_alu instid0(VALU_DEP_1)
	v_mov_b32_e32 v27, v22
	global_load_b64 v[22:23], v[26:27], off glc
	s_waitcnt vmcnt(0)
	global_atomic_cmpswap_b64 v[26:27], v7, v[22:25], s[2:3] offset:24 glc
	s_waitcnt vmcnt(0)
	buffer_gl1_inv
	buffer_gl0_inv
	v_cmp_eq_u64_e32 vcc_lo, v[26:27], v[24:25]
	s_or_b32 s13, vcc_lo, s13
	s_delay_alu instid0(SALU_CYCLE_1)
	s_and_not1_b32 exec_lo, exec_lo, s13
	s_cbranch_execnz .LBB7_81
; %bb.82:                               ;   in Loop: Header=BB7_29 Depth=1
	s_or_b32 exec_lo, exec_lo, s13
.LBB7_83:                               ;   in Loop: Header=BB7_29 Depth=1
	s_delay_alu instid0(SALU_CYCLE_1)
	s_or_b32 exec_lo, exec_lo, s12
.LBB7_84:                               ;   in Loop: Header=BB7_29 Depth=1
	s_delay_alu instid0(SALU_CYCLE_1)
	s_or_b32 exec_lo, exec_lo, s1
	s_clause 0x1
	global_load_b64 v[29:30], v7, s[2:3] offset:40
	global_load_b128 v[22:25], v7, s[2:3]
	v_readfirstlane_b32 s12, v26
	v_readfirstlane_b32 s13, v27
	s_mov_b32 s1, exec_lo
	s_waitcnt vmcnt(1)
	v_readfirstlane_b32 s14, v29
	v_readfirstlane_b32 s15, v30
	s_delay_alu instid0(VALU_DEP_1) | instskip(NEXT) | instid1(SALU_CYCLE_1)
	s_and_b64 s[14:15], s[12:13], s[14:15]
	s_mul_i32 s16, s15, 24
	s_mul_hi_u32 s17, s14, 24
	s_mul_i32 s18, s14, 24
	s_add_i32 s17, s17, s16
	s_waitcnt vmcnt(0)
	v_add_co_u32 v26, vcc_lo, v22, s18
	v_add_co_ci_u32_e32 v27, vcc_lo, s17, v23, vcc_lo
	s_and_saveexec_b32 s16, s0
	s_cbranch_execz .LBB7_86
; %bb.85:                               ;   in Loop: Header=BB7_29 Depth=1
	v_mov_b32_e32 v6, s1
	global_store_b128 v[26:27], v[6:9], off offset:8
.LBB7_86:                               ;   in Loop: Header=BB7_29 Depth=1
	s_or_b32 exec_lo, exec_lo, s16
	s_lshl_b64 s[14:15], s[14:15], 12
	v_cmp_gt_u64_e64 vcc_lo, s[6:7], 56
	v_or_b32_e32 v6, 0, v1
	v_or_b32_e32 v29, v0, v28
	v_add_co_u32 v24, s1, v24, s14
	s_delay_alu instid0(VALU_DEP_1) | instskip(SKIP_1) | instid1(VALU_DEP_3)
	v_add_co_ci_u32_e64 v25, s1, s15, v25, s1
	s_lshl_b32 s1, s10, 2
	v_dual_cndmask_b32 v1, v6, v1 :: v_dual_cndmask_b32 v0, v29, v0
	s_add_i32 s1, s1, 28
	v_readfirstlane_b32 s14, v24
	s_and_b32 s1, s1, 0x1e0
	v_readfirstlane_b32 s15, v25
	v_and_or_b32 v0, 0xffffff1f, v0, s1
	s_clause 0x3
	global_store_b128 v31, v[0:3], s[14:15]
	global_store_b128 v31, v[10:13], s[14:15] offset:16
	global_store_b128 v31, v[14:17], s[14:15] offset:32
	;; [unrolled: 1-line block ×3, first 2 shown]
	s_and_saveexec_b32 s1, s0
	s_cbranch_execz .LBB7_94
; %bb.87:                               ;   in Loop: Header=BB7_29 Depth=1
	s_clause 0x1
	global_load_b64 v[14:15], v7, s[2:3] offset:32 glc
	global_load_b64 v[0:1], v7, s[2:3] offset:40
	v_dual_mov_b32 v12, s12 :: v_dual_mov_b32 v13, s13
	s_waitcnt vmcnt(0)
	v_readfirstlane_b32 s14, v0
	v_readfirstlane_b32 s15, v1
	s_delay_alu instid0(VALU_DEP_1) | instskip(NEXT) | instid1(SALU_CYCLE_1)
	s_and_b64 s[14:15], s[14:15], s[12:13]
	s_mul_i32 s15, s15, 24
	s_mul_hi_u32 s16, s14, 24
	s_mul_i32 s14, s14, 24
	s_add_i32 s16, s16, s15
	v_add_co_u32 v10, vcc_lo, v22, s14
	v_add_co_ci_u32_e32 v11, vcc_lo, s16, v23, vcc_lo
	s_mov_b32 s14, exec_lo
	global_store_b64 v[10:11], v[14:15], off
	s_waitcnt_vscnt null, 0x0
	global_atomic_cmpswap_b64 v[2:3], v7, v[12:15], s[2:3] offset:32 glc
	s_waitcnt vmcnt(0)
	v_cmpx_ne_u64_e64 v[2:3], v[14:15]
	s_cbranch_execz .LBB7_90
; %bb.88:                               ;   in Loop: Header=BB7_29 Depth=1
	s_mov_b32 s15, 0
.LBB7_89:                               ;   Parent Loop BB7_29 Depth=1
                                        ; =>  This Inner Loop Header: Depth=2
	v_dual_mov_b32 v0, s12 :: v_dual_mov_b32 v1, s13
	s_sleep 1
	global_store_b64 v[10:11], v[2:3], off
	s_waitcnt_vscnt null, 0x0
	global_atomic_cmpswap_b64 v[0:1], v7, v[0:3], s[2:3] offset:32 glc
	s_waitcnt vmcnt(0)
	v_cmp_eq_u64_e32 vcc_lo, v[0:1], v[2:3]
	v_dual_mov_b32 v3, v1 :: v_dual_mov_b32 v2, v0
	s_or_b32 s15, vcc_lo, s15
	s_delay_alu instid0(SALU_CYCLE_1)
	s_and_not1_b32 exec_lo, exec_lo, s15
	s_cbranch_execnz .LBB7_89
.LBB7_90:                               ;   in Loop: Header=BB7_29 Depth=1
	s_or_b32 exec_lo, exec_lo, s14
	global_load_b64 v[0:1], v7, s[2:3] offset:16
	s_mov_b32 s15, exec_lo
	s_mov_b32 s14, exec_lo
	v_mbcnt_lo_u32_b32 v2, s15, 0
	s_delay_alu instid0(VALU_DEP_1)
	v_cmpx_eq_u32_e32 0, v2
	s_cbranch_execz .LBB7_92
; %bb.91:                               ;   in Loop: Header=BB7_29 Depth=1
	s_bcnt1_i32_b32 s15, s15
	s_delay_alu instid0(SALU_CYCLE_1)
	v_mov_b32_e32 v6, s15
	s_waitcnt vmcnt(0)
	global_atomic_add_u64 v[0:1], v[6:7], off offset:8
.LBB7_92:                               ;   in Loop: Header=BB7_29 Depth=1
	s_or_b32 exec_lo, exec_lo, s14
	s_waitcnt vmcnt(0)
	global_load_b64 v[2:3], v[0:1], off offset:16
	s_waitcnt vmcnt(0)
	v_cmp_eq_u64_e32 vcc_lo, 0, v[2:3]
	s_cbranch_vccnz .LBB7_94
; %bb.93:                               ;   in Loop: Header=BB7_29 Depth=1
	global_load_b32 v6, v[0:1], off offset:24
	s_waitcnt vmcnt(0)
	v_and_b32_e32 v0, 0xffffff, v6
	s_waitcnt_vscnt null, 0x0
	global_store_b64 v[2:3], v[6:7], off
	v_readfirstlane_b32 m0, v0
	s_sendmsg sendmsg(MSG_INTERRUPT)
.LBB7_94:                               ;   in Loop: Header=BB7_29 Depth=1
	s_or_b32 exec_lo, exec_lo, s1
	v_add_co_u32 v0, vcc_lo, v24, v31
	v_add_co_ci_u32_e32 v1, vcc_lo, 0, v25, vcc_lo
	s_branch .LBB7_98
	.p2align	6
.LBB7_95:                               ;   in Loop: Header=BB7_98 Depth=2
	s_or_b32 exec_lo, exec_lo, s1
	s_delay_alu instid0(VALU_DEP_1) | instskip(NEXT) | instid1(VALU_DEP_1)
	v_readfirstlane_b32 s1, v2
	s_cmp_eq_u32 s1, 0
	s_cbranch_scc1 .LBB7_97
; %bb.96:                               ;   in Loop: Header=BB7_98 Depth=2
	s_sleep 1
	s_cbranch_execnz .LBB7_98
	s_branch .LBB7_100
	.p2align	6
.LBB7_97:                               ;   in Loop: Header=BB7_29 Depth=1
	s_branch .LBB7_100
.LBB7_98:                               ;   Parent Loop BB7_29 Depth=1
                                        ; =>  This Inner Loop Header: Depth=2
	v_mov_b32_e32 v2, 1
	s_and_saveexec_b32 s1, s0
	s_cbranch_execz .LBB7_95
; %bb.99:                               ;   in Loop: Header=BB7_98 Depth=2
	global_load_b32 v2, v[26:27], off offset:20 glc
	s_waitcnt vmcnt(0)
	buffer_gl1_inv
	buffer_gl0_inv
	v_and_b32_e32 v2, 1, v2
	s_branch .LBB7_95
.LBB7_100:                              ;   in Loop: Header=BB7_29 Depth=1
	global_load_b128 v[0:3], v[0:1], off
	s_and_saveexec_b32 s1, s0
	s_cbranch_execz .LBB7_28
; %bb.101:                              ;   in Loop: Header=BB7_29 Depth=1
	s_clause 0x2
	global_load_b64 v[2:3], v7, s[2:3] offset:40
	global_load_b64 v[14:15], v7, s[2:3] offset:24 glc
	global_load_b64 v[12:13], v7, s[2:3]
	s_waitcnt vmcnt(2)
	v_add_co_u32 v6, vcc_lo, v2, 1
	v_add_co_ci_u32_e32 v16, vcc_lo, 0, v3, vcc_lo
	s_delay_alu instid0(VALU_DEP_2) | instskip(NEXT) | instid1(VALU_DEP_2)
	v_add_co_u32 v10, vcc_lo, v6, s12
	v_add_co_ci_u32_e32 v11, vcc_lo, s13, v16, vcc_lo
	s_delay_alu instid0(VALU_DEP_1) | instskip(SKIP_1) | instid1(VALU_DEP_1)
	v_cmp_eq_u64_e32 vcc_lo, 0, v[10:11]
	v_dual_cndmask_b32 v11, v11, v16 :: v_dual_cndmask_b32 v10, v10, v6
	v_and_b32_e32 v3, v11, v3
	s_delay_alu instid0(VALU_DEP_2) | instskip(NEXT) | instid1(VALU_DEP_1)
	v_and_b32_e32 v2, v10, v2
	v_mul_hi_u32 v6, v2, 24
	v_mul_lo_u32 v2, v2, 24
	s_waitcnt vmcnt(0)
	s_delay_alu instid0(VALU_DEP_1) | instskip(SKIP_2) | instid1(VALU_DEP_1)
	v_add_co_u32 v2, vcc_lo, v12, v2
	v_mov_b32_e32 v12, v14
	v_mul_lo_u32 v3, v3, 24
	v_add_nc_u32_e32 v3, v6, v3
	s_delay_alu instid0(VALU_DEP_1)
	v_add_co_ci_u32_e32 v3, vcc_lo, v13, v3, vcc_lo
	v_mov_b32_e32 v13, v15
	global_store_b64 v[2:3], v[14:15], off
	s_waitcnt_vscnt null, 0x0
	global_atomic_cmpswap_b64 v[12:13], v7, v[10:13], s[2:3] offset:24 glc
	s_waitcnt vmcnt(0)
	v_cmp_ne_u64_e32 vcc_lo, v[12:13], v[14:15]
	s_and_b32 exec_lo, exec_lo, vcc_lo
	s_cbranch_execz .LBB7_28
; %bb.102:                              ;   in Loop: Header=BB7_29 Depth=1
	s_mov_b32 s0, 0
.LBB7_103:                              ;   Parent Loop BB7_29 Depth=1
                                        ; =>  This Inner Loop Header: Depth=2
	s_sleep 1
	global_store_b64 v[2:3], v[12:13], off
	s_waitcnt_vscnt null, 0x0
	global_atomic_cmpswap_b64 v[14:15], v7, v[10:13], s[2:3] offset:24 glc
	s_waitcnt vmcnt(0)
	v_cmp_eq_u64_e32 vcc_lo, v[14:15], v[12:13]
	v_dual_mov_b32 v12, v14 :: v_dual_mov_b32 v13, v15
	s_or_b32 s0, vcc_lo, s0
	s_delay_alu instid0(SALU_CYCLE_1)
	s_and_not1_b32 exec_lo, exec_lo, s0
	s_cbranch_execnz .LBB7_103
	s_branch .LBB7_28
.LBB7_104:
                                        ; implicit-def: $vgpr0_vgpr1
	s_cbranch_execnz .LBB7_106
	s_branch .LBB7_133
.LBB7_105:
	s_branch .LBB7_133
.LBB7_106:
	v_readfirstlane_b32 s0, v32
	v_mov_b32_e32 v7, 0
	v_mov_b32_e32 v8, 0
	s_delay_alu instid0(VALU_DEP_3) | instskip(NEXT) | instid1(VALU_DEP_1)
	v_cmp_eq_u32_e64 s0, s0, v32
	s_and_saveexec_b32 s1, s0
	s_cbranch_execz .LBB7_112
; %bb.107:
	s_waitcnt vmcnt(0)
	v_mov_b32_e32 v0, 0
	s_mov_b32 s4, exec_lo
	global_load_b64 v[9:10], v0, s[2:3] offset:24 glc
	s_waitcnt vmcnt(0)
	buffer_gl1_inv
	buffer_gl0_inv
	s_clause 0x1
	global_load_b64 v[1:2], v0, s[2:3] offset:40
	global_load_b64 v[6:7], v0, s[2:3]
	s_waitcnt vmcnt(1)
	v_and_b32_e32 v1, v1, v9
	v_and_b32_e32 v2, v2, v10
	s_delay_alu instid0(VALU_DEP_2) | instskip(NEXT) | instid1(VALU_DEP_2)
	v_mul_hi_u32 v3, v1, 24
	v_mul_lo_u32 v2, v2, 24
	v_mul_lo_u32 v1, v1, 24
	s_delay_alu instid0(VALU_DEP_2) | instskip(SKIP_1) | instid1(VALU_DEP_2)
	v_add_nc_u32_e32 v2, v3, v2
	s_waitcnt vmcnt(0)
	v_add_co_u32 v1, vcc_lo, v6, v1
	s_delay_alu instid0(VALU_DEP_2)
	v_add_co_ci_u32_e32 v2, vcc_lo, v7, v2, vcc_lo
	global_load_b64 v[7:8], v[1:2], off glc
	s_waitcnt vmcnt(0)
	global_atomic_cmpswap_b64 v[7:8], v0, v[7:10], s[2:3] offset:24 glc
	s_waitcnt vmcnt(0)
	buffer_gl1_inv
	buffer_gl0_inv
	v_cmpx_ne_u64_e64 v[7:8], v[9:10]
	s_cbranch_execz .LBB7_111
; %bb.108:
	s_mov_b32 s5, 0
	.p2align	6
.LBB7_109:                              ; =>This Inner Loop Header: Depth=1
	s_sleep 1
	s_clause 0x1
	global_load_b64 v[1:2], v0, s[2:3] offset:40
	global_load_b64 v[11:12], v0, s[2:3]
	v_dual_mov_b32 v10, v8 :: v_dual_mov_b32 v9, v7
	s_waitcnt vmcnt(1)
	s_delay_alu instid0(VALU_DEP_1) | instskip(SKIP_1) | instid1(VALU_DEP_1)
	v_and_b32_e32 v1, v1, v9
	s_waitcnt vmcnt(0)
	v_mad_u64_u32 v[6:7], null, v1, 24, v[11:12]
	s_delay_alu instid0(VALU_DEP_1) | instskip(NEXT) | instid1(VALU_DEP_1)
	v_dual_mov_b32 v1, v7 :: v_dual_and_b32 v8, v2, v10
	v_mad_u64_u32 v[2:3], null, v8, 24, v[1:2]
	s_delay_alu instid0(VALU_DEP_1)
	v_mov_b32_e32 v7, v2
	global_load_b64 v[7:8], v[6:7], off glc
	s_waitcnt vmcnt(0)
	global_atomic_cmpswap_b64 v[7:8], v0, v[7:10], s[2:3] offset:24 glc
	s_waitcnt vmcnt(0)
	buffer_gl1_inv
	buffer_gl0_inv
	v_cmp_eq_u64_e32 vcc_lo, v[7:8], v[9:10]
	s_or_b32 s5, vcc_lo, s5
	s_delay_alu instid0(SALU_CYCLE_1)
	s_and_not1_b32 exec_lo, exec_lo, s5
	s_cbranch_execnz .LBB7_109
; %bb.110:
	s_or_b32 exec_lo, exec_lo, s5
.LBB7_111:
	s_delay_alu instid0(SALU_CYCLE_1)
	s_or_b32 exec_lo, exec_lo, s4
.LBB7_112:
	s_delay_alu instid0(SALU_CYCLE_1)
	s_or_b32 exec_lo, exec_lo, s1
	v_mov_b32_e32 v6, 0
	v_readfirstlane_b32 s4, v7
	v_readfirstlane_b32 s5, v8
	s_mov_b32 s1, exec_lo
	s_clause 0x1
	global_load_b64 v[9:10], v6, s[2:3] offset:40
	global_load_b128 v[0:3], v6, s[2:3]
	s_waitcnt vmcnt(1)
	v_readfirstlane_b32 s6, v9
	v_readfirstlane_b32 s7, v10
	s_delay_alu instid0(VALU_DEP_1) | instskip(NEXT) | instid1(SALU_CYCLE_1)
	s_and_b64 s[6:7], s[4:5], s[6:7]
	s_mul_i32 s10, s7, 24
	s_mul_hi_u32 s11, s6, 24
	s_mul_i32 s12, s6, 24
	s_add_i32 s11, s11, s10
	s_waitcnt vmcnt(0)
	v_add_co_u32 v8, vcc_lo, v0, s12
	v_add_co_ci_u32_e32 v9, vcc_lo, s11, v1, vcc_lo
	s_and_saveexec_b32 s10, s0
	s_cbranch_execz .LBB7_114
; %bb.113:
	v_dual_mov_b32 v10, s1 :: v_dual_mov_b32 v11, v6
	v_dual_mov_b32 v12, 2 :: v_dual_mov_b32 v13, 1
	global_store_b128 v[8:9], v[10:13], off offset:8
.LBB7_114:
	s_or_b32 exec_lo, exec_lo, s10
	s_lshl_b64 s[6:7], s[6:7], 12
	s_mov_b32 s12, 0
	v_add_co_u32 v2, vcc_lo, v2, s6
	v_add_co_ci_u32_e32 v3, vcc_lo, s7, v3, vcc_lo
	s_mov_b32 s13, s12
	s_delay_alu instid0(VALU_DEP_2)
	v_add_co_u32 v10, vcc_lo, v2, v31
	s_mov_b32 s14, s12
	s_mov_b32 s15, s12
	v_and_or_b32 v4, 0xffffff1f, v4, 32
	v_dual_mov_b32 v7, v6 :: v_dual_mov_b32 v12, s12
	v_readfirstlane_b32 s6, v2
	v_readfirstlane_b32 s7, v3
	v_add_co_ci_u32_e32 v11, vcc_lo, 0, v3, vcc_lo
	v_dual_mov_b32 v13, s13 :: v_dual_mov_b32 v14, s14
	v_mov_b32_e32 v15, s15
	s_clause 0x3
	global_store_b128 v31, v[4:7], s[6:7]
	global_store_b128 v31, v[12:15], s[6:7] offset:16
	global_store_b128 v31, v[12:15], s[6:7] offset:32
	;; [unrolled: 1-line block ×3, first 2 shown]
	s_and_saveexec_b32 s1, s0
	s_cbranch_execz .LBB7_122
; %bb.115:
	v_dual_mov_b32 v6, 0 :: v_dual_mov_b32 v13, s5
	v_mov_b32_e32 v12, s4
	s_clause 0x1
	global_load_b64 v[14:15], v6, s[2:3] offset:32 glc
	global_load_b64 v[2:3], v6, s[2:3] offset:40
	s_waitcnt vmcnt(0)
	v_readfirstlane_b32 s6, v2
	v_readfirstlane_b32 s7, v3
	s_delay_alu instid0(VALU_DEP_1) | instskip(NEXT) | instid1(SALU_CYCLE_1)
	s_and_b64 s[6:7], s[6:7], s[4:5]
	s_mul_i32 s7, s7, 24
	s_mul_hi_u32 s10, s6, 24
	s_mul_i32 s6, s6, 24
	s_add_i32 s10, s10, s7
	v_add_co_u32 v4, vcc_lo, v0, s6
	v_add_co_ci_u32_e32 v5, vcc_lo, s10, v1, vcc_lo
	s_mov_b32 s6, exec_lo
	global_store_b64 v[4:5], v[14:15], off
	s_waitcnt_vscnt null, 0x0
	global_atomic_cmpswap_b64 v[2:3], v6, v[12:15], s[2:3] offset:32 glc
	s_waitcnt vmcnt(0)
	v_cmpx_ne_u64_e64 v[2:3], v[14:15]
	s_cbranch_execz .LBB7_118
; %bb.116:
	s_mov_b32 s7, 0
.LBB7_117:                              ; =>This Inner Loop Header: Depth=1
	v_dual_mov_b32 v0, s4 :: v_dual_mov_b32 v1, s5
	s_sleep 1
	global_store_b64 v[4:5], v[2:3], off
	s_waitcnt_vscnt null, 0x0
	global_atomic_cmpswap_b64 v[0:1], v6, v[0:3], s[2:3] offset:32 glc
	s_waitcnt vmcnt(0)
	v_cmp_eq_u64_e32 vcc_lo, v[0:1], v[2:3]
	v_dual_mov_b32 v3, v1 :: v_dual_mov_b32 v2, v0
	s_or_b32 s7, vcc_lo, s7
	s_delay_alu instid0(SALU_CYCLE_1)
	s_and_not1_b32 exec_lo, exec_lo, s7
	s_cbranch_execnz .LBB7_117
.LBB7_118:
	s_or_b32 exec_lo, exec_lo, s6
	v_mov_b32_e32 v3, 0
	s_mov_b32 s7, exec_lo
	s_mov_b32 s6, exec_lo
	v_mbcnt_lo_u32_b32 v2, s7, 0
	global_load_b64 v[0:1], v3, s[2:3] offset:16
	v_cmpx_eq_u32_e32 0, v2
	s_cbranch_execz .LBB7_120
; %bb.119:
	s_bcnt1_i32_b32 s7, s7
	s_delay_alu instid0(SALU_CYCLE_1)
	v_mov_b32_e32 v2, s7
	s_waitcnt vmcnt(0)
	global_atomic_add_u64 v[0:1], v[2:3], off offset:8
.LBB7_120:
	s_or_b32 exec_lo, exec_lo, s6
	s_waitcnt vmcnt(0)
	global_load_b64 v[2:3], v[0:1], off offset:16
	s_waitcnt vmcnt(0)
	v_cmp_eq_u64_e32 vcc_lo, 0, v[2:3]
	s_cbranch_vccnz .LBB7_122
; %bb.121:
	global_load_b32 v0, v[0:1], off offset:24
	s_waitcnt vmcnt(0)
	v_dual_mov_b32 v1, 0 :: v_dual_and_b32 v4, 0xffffff, v0
	s_waitcnt_vscnt null, 0x0
	global_store_b64 v[2:3], v[0:1], off
	v_readfirstlane_b32 m0, v4
	s_sendmsg sendmsg(MSG_INTERRUPT)
.LBB7_122:
	s_or_b32 exec_lo, exec_lo, s1
	s_branch .LBB7_126
	.p2align	6
.LBB7_123:                              ;   in Loop: Header=BB7_126 Depth=1
	s_or_b32 exec_lo, exec_lo, s1
	s_delay_alu instid0(VALU_DEP_1) | instskip(NEXT) | instid1(VALU_DEP_1)
	v_readfirstlane_b32 s1, v0
	s_cmp_eq_u32 s1, 0
	s_cbranch_scc1 .LBB7_125
; %bb.124:                              ;   in Loop: Header=BB7_126 Depth=1
	s_sleep 1
	s_cbranch_execnz .LBB7_126
	s_branch .LBB7_128
	.p2align	6
.LBB7_125:
	s_branch .LBB7_128
.LBB7_126:                              ; =>This Inner Loop Header: Depth=1
	v_mov_b32_e32 v0, 1
	s_and_saveexec_b32 s1, s0
	s_cbranch_execz .LBB7_123
; %bb.127:                              ;   in Loop: Header=BB7_126 Depth=1
	global_load_b32 v0, v[8:9], off offset:20 glc
	s_waitcnt vmcnt(0)
	buffer_gl1_inv
	buffer_gl0_inv
	v_and_b32_e32 v0, 1, v0
	s_branch .LBB7_123
.LBB7_128:
	global_load_b64 v[0:1], v[10:11], off
	s_and_saveexec_b32 s1, s0
	s_cbranch_execz .LBB7_132
; %bb.129:
	v_mov_b32_e32 v8, 0
	s_clause 0x2
	global_load_b64 v[4:5], v8, s[2:3] offset:40
	global_load_b64 v[9:10], v8, s[2:3] offset:24 glc
	global_load_b64 v[6:7], v8, s[2:3]
	s_waitcnt vmcnt(2)
	v_add_co_u32 v11, vcc_lo, v4, 1
	v_add_co_ci_u32_e32 v12, vcc_lo, 0, v5, vcc_lo
	s_delay_alu instid0(VALU_DEP_2) | instskip(NEXT) | instid1(VALU_DEP_2)
	v_add_co_u32 v2, vcc_lo, v11, s4
	v_add_co_ci_u32_e32 v3, vcc_lo, s5, v12, vcc_lo
	s_delay_alu instid0(VALU_DEP_1) | instskip(SKIP_1) | instid1(VALU_DEP_1)
	v_cmp_eq_u64_e32 vcc_lo, 0, v[2:3]
	v_dual_cndmask_b32 v3, v3, v12 :: v_dual_cndmask_b32 v2, v2, v11
	v_and_b32_e32 v5, v3, v5
	s_delay_alu instid0(VALU_DEP_2) | instskip(NEXT) | instid1(VALU_DEP_2)
	v_and_b32_e32 v4, v2, v4
	v_mul_lo_u32 v5, v5, 24
	s_delay_alu instid0(VALU_DEP_2) | instskip(SKIP_1) | instid1(VALU_DEP_2)
	v_mul_hi_u32 v11, v4, 24
	v_mul_lo_u32 v4, v4, 24
	v_add_nc_u32_e32 v5, v11, v5
	s_waitcnt vmcnt(0)
	s_delay_alu instid0(VALU_DEP_2) | instskip(SKIP_1) | instid1(VALU_DEP_3)
	v_add_co_u32 v6, vcc_lo, v6, v4
	v_mov_b32_e32 v4, v9
	v_add_co_ci_u32_e32 v7, vcc_lo, v7, v5, vcc_lo
	v_mov_b32_e32 v5, v10
	global_store_b64 v[6:7], v[9:10], off
	s_waitcnt_vscnt null, 0x0
	global_atomic_cmpswap_b64 v[4:5], v8, v[2:5], s[2:3] offset:24 glc
	s_waitcnt vmcnt(0)
	v_cmp_ne_u64_e32 vcc_lo, v[4:5], v[9:10]
	s_and_b32 exec_lo, exec_lo, vcc_lo
	s_cbranch_execz .LBB7_132
; %bb.130:
	s_mov_b32 s0, 0
.LBB7_131:                              ; =>This Inner Loop Header: Depth=1
	s_sleep 1
	global_store_b64 v[6:7], v[4:5], off
	s_waitcnt_vscnt null, 0x0
	global_atomic_cmpswap_b64 v[9:10], v8, v[2:5], s[2:3] offset:24 glc
	s_waitcnt vmcnt(0)
	v_cmp_eq_u64_e32 vcc_lo, v[9:10], v[4:5]
	v_dual_mov_b32 v4, v9 :: v_dual_mov_b32 v5, v10
	s_or_b32 s0, vcc_lo, s0
	s_delay_alu instid0(SALU_CYCLE_1)
	s_and_not1_b32 exec_lo, exec_lo, s0
	s_cbranch_execnz .LBB7_131
.LBB7_132:
	s_or_b32 exec_lo, exec_lo, s1
.LBB7_133:
	s_getpc_b64 s[0:1]
	s_add_u32 s0, s0, .str.1@rel32@lo+4
	s_addc_u32 s1, s1, .str.1@rel32@hi+12
	s_mov_b64 s[4:5], 0
	s_cmp_lg_u64 s[0:1], 0
	s_cselect_b32 s6, -1, 0
	s_cmp_eq_u64 s[0:1], 0
	s_cbranch_scc1 .LBB7_137
; %bb.134:
	s_waitcnt vmcnt(0)
	v_mov_b32_e32 v2, 0
	s_getpc_b64 s[0:1]
	s_add_u32 s0, s0, .str.1@rel32@lo+3
	s_addc_u32 s1, s1, .str.1@rel32@hi+11
.LBB7_135:                              ; =>This Inner Loop Header: Depth=1
	global_load_u8 v3, v2, s[0:1] offset:1
	s_add_u32 s4, s0, 1
	s_addc_u32 s5, s1, 0
	s_delay_alu instid0(SALU_CYCLE_1)
	s_mov_b64 s[0:1], s[4:5]
	s_waitcnt vmcnt(0)
	v_cmp_ne_u16_e32 vcc_lo, 0, v3
	s_cbranch_vccnz .LBB7_135
; %bb.136:
	s_getpc_b64 s[0:1]
	s_add_u32 s0, s0, .str.1@rel32@lo+4
	s_addc_u32 s1, s1, .str.1@rel32@hi+12
	s_sub_u32 s0, s4, s0
	s_subb_u32 s1, s5, s1
	s_add_u32 s4, s0, 1
	s_addc_u32 s5, s1, 0
.LBB7_137:
	s_and_b32 vcc_lo, exec_lo, s6
	s_cbranch_vccz .LBB7_215
; %bb.138:
	s_waitcnt vmcnt(0)
	v_dual_mov_b32 v6, 0 :: v_dual_and_b32 v33, 2, v0
	v_dual_mov_b32 v3, v1 :: v_dual_and_b32 v2, -3, v0
	v_dual_mov_b32 v7, 2 :: v_dual_mov_b32 v8, 1
	s_getpc_b64 s[6:7]
	s_add_u32 s6, s6, .str.1@rel32@lo+4
	s_addc_u32 s7, s7, .str.1@rel32@hi+12
	s_branch .LBB7_140
.LBB7_139:                              ;   in Loop: Header=BB7_140 Depth=1
	s_or_b32 exec_lo, exec_lo, s1
	s_sub_u32 s4, s4, s10
	s_subb_u32 s5, s5, s11
	s_add_u32 s6, s6, s10
	s_addc_u32 s7, s7, s11
	s_cmp_lg_u64 s[4:5], 0
	s_cbranch_scc0 .LBB7_216
.LBB7_140:                              ; =>This Loop Header: Depth=1
                                        ;     Child Loop BB7_149 Depth 2
                                        ;     Child Loop BB7_145 Depth 2
	;; [unrolled: 1-line block ×11, first 2 shown]
	v_cmp_lt_u64_e64 s0, s[4:5], 56
	v_cmp_gt_u64_e64 s1, s[4:5], 7
                                        ; implicit-def: $vgpr11_vgpr12
                                        ; implicit-def: $sgpr16
	s_delay_alu instid0(VALU_DEP_2) | instskip(SKIP_2) | instid1(VALU_DEP_1)
	s_and_b32 s0, s0, exec_lo
	s_cselect_b32 s11, s5, 0
	s_cselect_b32 s10, s4, 56
	s_and_b32 vcc_lo, exec_lo, s1
	s_mov_b32 s0, -1
	s_cbranch_vccz .LBB7_147
; %bb.141:                              ;   in Loop: Header=BB7_140 Depth=1
	s_and_not1_b32 vcc_lo, exec_lo, s0
	s_mov_b64 s[0:1], s[6:7]
	s_cbranch_vccz .LBB7_151
.LBB7_142:                              ;   in Loop: Header=BB7_140 Depth=1
	s_cmp_gt_u32 s16, 7
	s_cbranch_scc1 .LBB7_152
.LBB7_143:                              ;   in Loop: Header=BB7_140 Depth=1
	v_mov_b32_e32 v13, 0
	v_mov_b32_e32 v14, 0
	s_cmp_eq_u32 s16, 0
	s_cbranch_scc1 .LBB7_146
; %bb.144:                              ;   in Loop: Header=BB7_140 Depth=1
	s_mov_b64 s[12:13], 0
	s_mov_b64 s[14:15], 0
.LBB7_145:                              ;   Parent Loop BB7_140 Depth=1
                                        ; =>  This Inner Loop Header: Depth=2
	s_delay_alu instid0(SALU_CYCLE_1)
	s_add_u32 s18, s0, s14
	s_addc_u32 s19, s1, s15
	s_add_u32 s14, s14, 1
	global_load_u8 v4, v6, s[18:19]
	s_addc_u32 s15, s15, 0
	s_waitcnt vmcnt(0)
	v_and_b32_e32 v5, 0xffff, v4
	s_delay_alu instid0(VALU_DEP_1) | instskip(SKIP_3) | instid1(VALU_DEP_1)
	v_lshlrev_b64 v[4:5], s12, v[5:6]
	s_add_u32 s12, s12, 8
	s_addc_u32 s13, s13, 0
	s_cmp_lg_u32 s16, s14
	v_or_b32_e32 v13, v4, v13
	s_delay_alu instid0(VALU_DEP_2)
	v_or_b32_e32 v14, v5, v14
	s_cbranch_scc1 .LBB7_145
.LBB7_146:                              ;   in Loop: Header=BB7_140 Depth=1
	s_mov_b32 s17, 0
	s_cbranch_execz .LBB7_153
	s_branch .LBB7_154
.LBB7_147:                              ;   in Loop: Header=BB7_140 Depth=1
	v_mov_b32_e32 v11, 0
	v_mov_b32_e32 v12, 0
	s_cmp_eq_u64 s[4:5], 0
	s_mov_b64 s[0:1], 0
	s_cbranch_scc1 .LBB7_150
; %bb.148:                              ;   in Loop: Header=BB7_140 Depth=1
	v_mov_b32_e32 v11, 0
	v_mov_b32_e32 v12, 0
	s_lshl_b64 s[12:13], s[10:11], 3
	s_mov_b64 s[14:15], s[6:7]
.LBB7_149:                              ;   Parent Loop BB7_140 Depth=1
                                        ; =>  This Inner Loop Header: Depth=2
	global_load_u8 v4, v6, s[14:15]
	s_waitcnt vmcnt(0)
	v_and_b32_e32 v5, 0xffff, v4
	s_delay_alu instid0(VALU_DEP_1)
	v_lshlrev_b64 v[4:5], s0, v[5:6]
	s_add_u32 s0, s0, 8
	s_addc_u32 s1, s1, 0
	s_add_u32 s14, s14, 1
	s_addc_u32 s15, s15, 0
	s_cmp_lg_u32 s12, s0
	v_or_b32_e32 v11, v4, v11
	v_or_b32_e32 v12, v5, v12
	s_cbranch_scc1 .LBB7_149
.LBB7_150:                              ;   in Loop: Header=BB7_140 Depth=1
	s_mov_b32 s16, 0
	s_mov_b64 s[0:1], s[6:7]
	s_cbranch_execnz .LBB7_142
.LBB7_151:                              ;   in Loop: Header=BB7_140 Depth=1
	global_load_b64 v[11:12], v6, s[6:7]
	s_add_i32 s16, s10, -8
	s_add_u32 s0, s6, 8
	s_addc_u32 s1, s7, 0
	s_cmp_gt_u32 s16, 7
	s_cbranch_scc0 .LBB7_143
.LBB7_152:                              ;   in Loop: Header=BB7_140 Depth=1
                                        ; implicit-def: $vgpr13_vgpr14
                                        ; implicit-def: $sgpr17
.LBB7_153:                              ;   in Loop: Header=BB7_140 Depth=1
	global_load_b64 v[13:14], v6, s[0:1]
	s_add_i32 s17, s16, -8
	s_add_u32 s0, s0, 8
	s_addc_u32 s1, s1, 0
.LBB7_154:                              ;   in Loop: Header=BB7_140 Depth=1
	s_cmp_gt_u32 s17, 7
	s_cbranch_scc1 .LBB7_159
; %bb.155:                              ;   in Loop: Header=BB7_140 Depth=1
	v_mov_b32_e32 v15, 0
	v_mov_b32_e32 v16, 0
	s_cmp_eq_u32 s17, 0
	s_cbranch_scc1 .LBB7_158
; %bb.156:                              ;   in Loop: Header=BB7_140 Depth=1
	s_mov_b64 s[12:13], 0
	s_mov_b64 s[14:15], 0
.LBB7_157:                              ;   Parent Loop BB7_140 Depth=1
                                        ; =>  This Inner Loop Header: Depth=2
	s_delay_alu instid0(SALU_CYCLE_1)
	s_add_u32 s18, s0, s14
	s_addc_u32 s19, s1, s15
	s_add_u32 s14, s14, 1
	global_load_u8 v4, v6, s[18:19]
	s_addc_u32 s15, s15, 0
	s_waitcnt vmcnt(0)
	v_and_b32_e32 v5, 0xffff, v4
	s_delay_alu instid0(VALU_DEP_1) | instskip(SKIP_3) | instid1(VALU_DEP_1)
	v_lshlrev_b64 v[4:5], s12, v[5:6]
	s_add_u32 s12, s12, 8
	s_addc_u32 s13, s13, 0
	s_cmp_lg_u32 s17, s14
	v_or_b32_e32 v15, v4, v15
	s_delay_alu instid0(VALU_DEP_2)
	v_or_b32_e32 v16, v5, v16
	s_cbranch_scc1 .LBB7_157
.LBB7_158:                              ;   in Loop: Header=BB7_140 Depth=1
	s_mov_b32 s16, 0
	s_cbranch_execz .LBB7_160
	s_branch .LBB7_161
.LBB7_159:                              ;   in Loop: Header=BB7_140 Depth=1
                                        ; implicit-def: $sgpr16
.LBB7_160:                              ;   in Loop: Header=BB7_140 Depth=1
	global_load_b64 v[15:16], v6, s[0:1]
	s_add_i32 s16, s17, -8
	s_add_u32 s0, s0, 8
	s_addc_u32 s1, s1, 0
.LBB7_161:                              ;   in Loop: Header=BB7_140 Depth=1
	s_cmp_gt_u32 s16, 7
	s_cbranch_scc1 .LBB7_166
; %bb.162:                              ;   in Loop: Header=BB7_140 Depth=1
	v_mov_b32_e32 v17, 0
	v_mov_b32_e32 v18, 0
	s_cmp_eq_u32 s16, 0
	s_cbranch_scc1 .LBB7_165
; %bb.163:                              ;   in Loop: Header=BB7_140 Depth=1
	s_mov_b64 s[12:13], 0
	s_mov_b64 s[14:15], 0
.LBB7_164:                              ;   Parent Loop BB7_140 Depth=1
                                        ; =>  This Inner Loop Header: Depth=2
	s_delay_alu instid0(SALU_CYCLE_1)
	s_add_u32 s18, s0, s14
	s_addc_u32 s19, s1, s15
	s_add_u32 s14, s14, 1
	global_load_u8 v4, v6, s[18:19]
	s_addc_u32 s15, s15, 0
	s_waitcnt vmcnt(0)
	v_and_b32_e32 v5, 0xffff, v4
	s_delay_alu instid0(VALU_DEP_1) | instskip(SKIP_3) | instid1(VALU_DEP_1)
	v_lshlrev_b64 v[4:5], s12, v[5:6]
	s_add_u32 s12, s12, 8
	s_addc_u32 s13, s13, 0
	s_cmp_lg_u32 s16, s14
	v_or_b32_e32 v17, v4, v17
	s_delay_alu instid0(VALU_DEP_2)
	v_or_b32_e32 v18, v5, v18
	s_cbranch_scc1 .LBB7_164
.LBB7_165:                              ;   in Loop: Header=BB7_140 Depth=1
	s_mov_b32 s17, 0
	s_cbranch_execz .LBB7_167
	s_branch .LBB7_168
.LBB7_166:                              ;   in Loop: Header=BB7_140 Depth=1
                                        ; implicit-def: $vgpr17_vgpr18
                                        ; implicit-def: $sgpr17
.LBB7_167:                              ;   in Loop: Header=BB7_140 Depth=1
	global_load_b64 v[17:18], v6, s[0:1]
	s_add_i32 s17, s16, -8
	s_add_u32 s0, s0, 8
	s_addc_u32 s1, s1, 0
.LBB7_168:                              ;   in Loop: Header=BB7_140 Depth=1
	s_cmp_gt_u32 s17, 7
	s_cbranch_scc1 .LBB7_173
; %bb.169:                              ;   in Loop: Header=BB7_140 Depth=1
	v_mov_b32_e32 v19, 0
	v_mov_b32_e32 v20, 0
	s_cmp_eq_u32 s17, 0
	s_cbranch_scc1 .LBB7_172
; %bb.170:                              ;   in Loop: Header=BB7_140 Depth=1
	s_mov_b64 s[12:13], 0
	s_mov_b64 s[14:15], 0
.LBB7_171:                              ;   Parent Loop BB7_140 Depth=1
                                        ; =>  This Inner Loop Header: Depth=2
	s_delay_alu instid0(SALU_CYCLE_1)
	s_add_u32 s18, s0, s14
	s_addc_u32 s19, s1, s15
	s_add_u32 s14, s14, 1
	global_load_u8 v4, v6, s[18:19]
	s_addc_u32 s15, s15, 0
	s_waitcnt vmcnt(0)
	v_and_b32_e32 v5, 0xffff, v4
	s_delay_alu instid0(VALU_DEP_1) | instskip(SKIP_3) | instid1(VALU_DEP_1)
	v_lshlrev_b64 v[4:5], s12, v[5:6]
	s_add_u32 s12, s12, 8
	s_addc_u32 s13, s13, 0
	s_cmp_lg_u32 s17, s14
	v_or_b32_e32 v19, v4, v19
	s_delay_alu instid0(VALU_DEP_2)
	v_or_b32_e32 v20, v5, v20
	s_cbranch_scc1 .LBB7_171
.LBB7_172:                              ;   in Loop: Header=BB7_140 Depth=1
	s_mov_b32 s16, 0
	s_cbranch_execz .LBB7_174
	s_branch .LBB7_175
.LBB7_173:                              ;   in Loop: Header=BB7_140 Depth=1
                                        ; implicit-def: $sgpr16
.LBB7_174:                              ;   in Loop: Header=BB7_140 Depth=1
	global_load_b64 v[19:20], v6, s[0:1]
	s_add_i32 s16, s17, -8
	s_add_u32 s0, s0, 8
	s_addc_u32 s1, s1, 0
.LBB7_175:                              ;   in Loop: Header=BB7_140 Depth=1
	s_cmp_gt_u32 s16, 7
	s_cbranch_scc1 .LBB7_180
; %bb.176:                              ;   in Loop: Header=BB7_140 Depth=1
	v_mov_b32_e32 v21, 0
	v_mov_b32_e32 v22, 0
	s_cmp_eq_u32 s16, 0
	s_cbranch_scc1 .LBB7_179
; %bb.177:                              ;   in Loop: Header=BB7_140 Depth=1
	s_mov_b64 s[12:13], 0
	s_mov_b64 s[14:15], 0
.LBB7_178:                              ;   Parent Loop BB7_140 Depth=1
                                        ; =>  This Inner Loop Header: Depth=2
	s_delay_alu instid0(SALU_CYCLE_1)
	s_add_u32 s18, s0, s14
	s_addc_u32 s19, s1, s15
	s_add_u32 s14, s14, 1
	global_load_u8 v4, v6, s[18:19]
	s_addc_u32 s15, s15, 0
	s_waitcnt vmcnt(0)
	v_and_b32_e32 v5, 0xffff, v4
	s_delay_alu instid0(VALU_DEP_1) | instskip(SKIP_3) | instid1(VALU_DEP_1)
	v_lshlrev_b64 v[4:5], s12, v[5:6]
	s_add_u32 s12, s12, 8
	s_addc_u32 s13, s13, 0
	s_cmp_lg_u32 s16, s14
	v_or_b32_e32 v21, v4, v21
	s_delay_alu instid0(VALU_DEP_2)
	v_or_b32_e32 v22, v5, v22
	s_cbranch_scc1 .LBB7_178
.LBB7_179:                              ;   in Loop: Header=BB7_140 Depth=1
	s_mov_b32 s17, 0
	s_cbranch_execz .LBB7_181
	s_branch .LBB7_182
.LBB7_180:                              ;   in Loop: Header=BB7_140 Depth=1
                                        ; implicit-def: $vgpr21_vgpr22
                                        ; implicit-def: $sgpr17
.LBB7_181:                              ;   in Loop: Header=BB7_140 Depth=1
	global_load_b64 v[21:22], v6, s[0:1]
	s_add_i32 s17, s16, -8
	s_add_u32 s0, s0, 8
	s_addc_u32 s1, s1, 0
.LBB7_182:                              ;   in Loop: Header=BB7_140 Depth=1
	s_cmp_gt_u32 s17, 7
	s_cbranch_scc1 .LBB7_187
; %bb.183:                              ;   in Loop: Header=BB7_140 Depth=1
	v_mov_b32_e32 v23, 0
	v_mov_b32_e32 v24, 0
	s_cmp_eq_u32 s17, 0
	s_cbranch_scc1 .LBB7_186
; %bb.184:                              ;   in Loop: Header=BB7_140 Depth=1
	s_mov_b64 s[12:13], 0
	s_mov_b64 s[14:15], s[0:1]
.LBB7_185:                              ;   Parent Loop BB7_140 Depth=1
                                        ; =>  This Inner Loop Header: Depth=2
	global_load_u8 v4, v6, s[14:15]
	s_add_i32 s17, s17, -1
	s_waitcnt vmcnt(0)
	v_and_b32_e32 v5, 0xffff, v4
	s_delay_alu instid0(VALU_DEP_1)
	v_lshlrev_b64 v[4:5], s12, v[5:6]
	s_add_u32 s12, s12, 8
	s_addc_u32 s13, s13, 0
	s_add_u32 s14, s14, 1
	s_addc_u32 s15, s15, 0
	s_cmp_lg_u32 s17, 0
	v_or_b32_e32 v23, v4, v23
	v_or_b32_e32 v24, v5, v24
	s_cbranch_scc1 .LBB7_185
.LBB7_186:                              ;   in Loop: Header=BB7_140 Depth=1
	s_cbranch_execz .LBB7_188
	s_branch .LBB7_189
.LBB7_187:                              ;   in Loop: Header=BB7_140 Depth=1
.LBB7_188:                              ;   in Loop: Header=BB7_140 Depth=1
	global_load_b64 v[23:24], v6, s[0:1]
.LBB7_189:                              ;   in Loop: Header=BB7_140 Depth=1
	v_readfirstlane_b32 s0, v32
	s_waitcnt vmcnt(0)
	v_mov_b32_e32 v4, 0
	v_mov_b32_e32 v5, 0
	s_delay_alu instid0(VALU_DEP_3) | instskip(NEXT) | instid1(VALU_DEP_1)
	v_cmp_eq_u32_e64 s0, s0, v32
	s_and_saveexec_b32 s1, s0
	s_cbranch_execz .LBB7_195
; %bb.190:                              ;   in Loop: Header=BB7_140 Depth=1
	global_load_b64 v[27:28], v6, s[2:3] offset:24 glc
	s_waitcnt vmcnt(0)
	buffer_gl1_inv
	buffer_gl0_inv
	s_clause 0x1
	global_load_b64 v[4:5], v6, s[2:3] offset:40
	global_load_b64 v[9:10], v6, s[2:3]
	s_mov_b32 s12, exec_lo
	s_waitcnt vmcnt(1)
	v_and_b32_e32 v5, v5, v28
	v_and_b32_e32 v4, v4, v27
	s_delay_alu instid0(VALU_DEP_2) | instskip(NEXT) | instid1(VALU_DEP_2)
	v_mul_lo_u32 v5, v5, 24
	v_mul_hi_u32 v25, v4, 24
	v_mul_lo_u32 v4, v4, 24
	s_delay_alu instid0(VALU_DEP_2) | instskip(SKIP_1) | instid1(VALU_DEP_2)
	v_add_nc_u32_e32 v5, v25, v5
	s_waitcnt vmcnt(0)
	v_add_co_u32 v4, vcc_lo, v9, v4
	s_delay_alu instid0(VALU_DEP_2)
	v_add_co_ci_u32_e32 v5, vcc_lo, v10, v5, vcc_lo
	global_load_b64 v[25:26], v[4:5], off glc
	s_waitcnt vmcnt(0)
	global_atomic_cmpswap_b64 v[4:5], v6, v[25:28], s[2:3] offset:24 glc
	s_waitcnt vmcnt(0)
	buffer_gl1_inv
	buffer_gl0_inv
	v_cmpx_ne_u64_e64 v[4:5], v[27:28]
	s_cbranch_execz .LBB7_194
; %bb.191:                              ;   in Loop: Header=BB7_140 Depth=1
	s_mov_b32 s13, 0
	.p2align	6
.LBB7_192:                              ;   Parent Loop BB7_140 Depth=1
                                        ; =>  This Inner Loop Header: Depth=2
	s_sleep 1
	s_clause 0x1
	global_load_b64 v[9:10], v6, s[2:3] offset:40
	global_load_b64 v[25:26], v6, s[2:3]
	v_dual_mov_b32 v28, v5 :: v_dual_mov_b32 v27, v4
	s_waitcnt vmcnt(1)
	s_delay_alu instid0(VALU_DEP_1) | instskip(SKIP_1) | instid1(VALU_DEP_1)
	v_and_b32_e32 v9, v9, v27
	s_waitcnt vmcnt(0)
	v_mad_u64_u32 v[4:5], null, v9, 24, v[25:26]
	v_and_b32_e32 v25, v10, v28
	s_delay_alu instid0(VALU_DEP_1) | instskip(NEXT) | instid1(VALU_DEP_1)
	v_mad_u64_u32 v[9:10], null, v25, 24, v[5:6]
	v_mov_b32_e32 v5, v9
	global_load_b64 v[25:26], v[4:5], off glc
	s_waitcnt vmcnt(0)
	global_atomic_cmpswap_b64 v[4:5], v6, v[25:28], s[2:3] offset:24 glc
	s_waitcnt vmcnt(0)
	buffer_gl1_inv
	buffer_gl0_inv
	v_cmp_eq_u64_e32 vcc_lo, v[4:5], v[27:28]
	s_or_b32 s13, vcc_lo, s13
	s_delay_alu instid0(SALU_CYCLE_1)
	s_and_not1_b32 exec_lo, exec_lo, s13
	s_cbranch_execnz .LBB7_192
; %bb.193:                              ;   in Loop: Header=BB7_140 Depth=1
	s_or_b32 exec_lo, exec_lo, s13
.LBB7_194:                              ;   in Loop: Header=BB7_140 Depth=1
	s_delay_alu instid0(SALU_CYCLE_1)
	s_or_b32 exec_lo, exec_lo, s12
.LBB7_195:                              ;   in Loop: Header=BB7_140 Depth=1
	s_delay_alu instid0(SALU_CYCLE_1)
	s_or_b32 exec_lo, exec_lo, s1
	s_clause 0x1
	global_load_b64 v[9:10], v6, s[2:3] offset:40
	global_load_b128 v[25:28], v6, s[2:3]
	v_readfirstlane_b32 s12, v4
	v_readfirstlane_b32 s13, v5
	s_mov_b32 s1, exec_lo
	s_waitcnt vmcnt(1)
	v_readfirstlane_b32 s14, v9
	v_readfirstlane_b32 s15, v10
	s_delay_alu instid0(VALU_DEP_1) | instskip(NEXT) | instid1(SALU_CYCLE_1)
	s_and_b64 s[14:15], s[12:13], s[14:15]
	s_mul_i32 s16, s15, 24
	s_mul_hi_u32 s17, s14, 24
	s_mul_i32 s18, s14, 24
	s_add_i32 s17, s17, s16
	s_waitcnt vmcnt(0)
	v_add_co_u32 v29, vcc_lo, v25, s18
	v_add_co_ci_u32_e32 v30, vcc_lo, s17, v26, vcc_lo
	s_and_saveexec_b32 s16, s0
	s_cbranch_execz .LBB7_197
; %bb.196:                              ;   in Loop: Header=BB7_140 Depth=1
	v_mov_b32_e32 v5, s1
	global_store_b128 v[29:30], v[5:8], off offset:8
.LBB7_197:                              ;   in Loop: Header=BB7_140 Depth=1
	s_or_b32 exec_lo, exec_lo, s16
	s_lshl_b64 s[14:15], s[14:15], 12
	v_cmp_gt_u64_e64 vcc_lo, s[4:5], 56
	v_or_b32_e32 v5, v2, v33
	v_add_co_u32 v27, s1, v27, s14
	s_delay_alu instid0(VALU_DEP_1)
	v_add_co_ci_u32_e64 v28, s1, s15, v28, s1
	s_lshl_b32 s1, s10, 2
	v_or_b32_e32 v4, 0, v3
	v_cndmask_b32_e32 v2, v5, v2, vcc_lo
	s_add_i32 s1, s1, 28
	v_readfirstlane_b32 s14, v27
	s_and_b32 s1, s1, 0x1e0
	v_cndmask_b32_e32 v10, v4, v3, vcc_lo
	v_readfirstlane_b32 s15, v28
	v_and_or_b32 v9, 0xffffff1f, v2, s1
	s_clause 0x3
	global_store_b128 v31, v[9:12], s[14:15]
	global_store_b128 v31, v[13:16], s[14:15] offset:16
	global_store_b128 v31, v[17:20], s[14:15] offset:32
	;; [unrolled: 1-line block ×3, first 2 shown]
	s_and_saveexec_b32 s1, s0
	s_cbranch_execz .LBB7_205
; %bb.198:                              ;   in Loop: Header=BB7_140 Depth=1
	s_clause 0x1
	global_load_b64 v[13:14], v6, s[2:3] offset:32 glc
	global_load_b64 v[2:3], v6, s[2:3] offset:40
	v_dual_mov_b32 v11, s12 :: v_dual_mov_b32 v12, s13
	s_waitcnt vmcnt(0)
	v_readfirstlane_b32 s14, v2
	v_readfirstlane_b32 s15, v3
	s_delay_alu instid0(VALU_DEP_1) | instskip(NEXT) | instid1(SALU_CYCLE_1)
	s_and_b64 s[14:15], s[14:15], s[12:13]
	s_mul_i32 s15, s15, 24
	s_mul_hi_u32 s16, s14, 24
	s_mul_i32 s14, s14, 24
	s_add_i32 s16, s16, s15
	v_add_co_u32 v9, vcc_lo, v25, s14
	v_add_co_ci_u32_e32 v10, vcc_lo, s16, v26, vcc_lo
	s_mov_b32 s14, exec_lo
	global_store_b64 v[9:10], v[13:14], off
	s_waitcnt_vscnt null, 0x0
	global_atomic_cmpswap_b64 v[4:5], v6, v[11:14], s[2:3] offset:32 glc
	s_waitcnt vmcnt(0)
	v_cmpx_ne_u64_e64 v[4:5], v[13:14]
	s_cbranch_execz .LBB7_201
; %bb.199:                              ;   in Loop: Header=BB7_140 Depth=1
	s_mov_b32 s15, 0
.LBB7_200:                              ;   Parent Loop BB7_140 Depth=1
                                        ; =>  This Inner Loop Header: Depth=2
	v_dual_mov_b32 v2, s12 :: v_dual_mov_b32 v3, s13
	s_sleep 1
	global_store_b64 v[9:10], v[4:5], off
	s_waitcnt_vscnt null, 0x0
	global_atomic_cmpswap_b64 v[2:3], v6, v[2:5], s[2:3] offset:32 glc
	s_waitcnt vmcnt(0)
	v_cmp_eq_u64_e32 vcc_lo, v[2:3], v[4:5]
	v_dual_mov_b32 v5, v3 :: v_dual_mov_b32 v4, v2
	s_or_b32 s15, vcc_lo, s15
	s_delay_alu instid0(SALU_CYCLE_1)
	s_and_not1_b32 exec_lo, exec_lo, s15
	s_cbranch_execnz .LBB7_200
.LBB7_201:                              ;   in Loop: Header=BB7_140 Depth=1
	s_or_b32 exec_lo, exec_lo, s14
	global_load_b64 v[2:3], v6, s[2:3] offset:16
	s_mov_b32 s15, exec_lo
	s_mov_b32 s14, exec_lo
	v_mbcnt_lo_u32_b32 v4, s15, 0
	s_delay_alu instid0(VALU_DEP_1)
	v_cmpx_eq_u32_e32 0, v4
	s_cbranch_execz .LBB7_203
; %bb.202:                              ;   in Loop: Header=BB7_140 Depth=1
	s_bcnt1_i32_b32 s15, s15
	s_delay_alu instid0(SALU_CYCLE_1)
	v_mov_b32_e32 v5, s15
	s_waitcnt vmcnt(0)
	global_atomic_add_u64 v[2:3], v[5:6], off offset:8
.LBB7_203:                              ;   in Loop: Header=BB7_140 Depth=1
	s_or_b32 exec_lo, exec_lo, s14
	s_waitcnt vmcnt(0)
	global_load_b64 v[9:10], v[2:3], off offset:16
	s_waitcnt vmcnt(0)
	v_cmp_eq_u64_e32 vcc_lo, 0, v[9:10]
	s_cbranch_vccnz .LBB7_205
; %bb.204:                              ;   in Loop: Header=BB7_140 Depth=1
	global_load_b32 v5, v[2:3], off offset:24
	s_waitcnt vmcnt(0)
	v_and_b32_e32 v2, 0xffffff, v5
	s_waitcnt_vscnt null, 0x0
	global_store_b64 v[9:10], v[5:6], off
	v_readfirstlane_b32 m0, v2
	s_sendmsg sendmsg(MSG_INTERRUPT)
.LBB7_205:                              ;   in Loop: Header=BB7_140 Depth=1
	s_or_b32 exec_lo, exec_lo, s1
	v_add_co_u32 v2, vcc_lo, v27, v31
	v_add_co_ci_u32_e32 v3, vcc_lo, 0, v28, vcc_lo
	s_branch .LBB7_209
	.p2align	6
.LBB7_206:                              ;   in Loop: Header=BB7_209 Depth=2
	s_or_b32 exec_lo, exec_lo, s1
	s_delay_alu instid0(VALU_DEP_1) | instskip(NEXT) | instid1(VALU_DEP_1)
	v_readfirstlane_b32 s1, v4
	s_cmp_eq_u32 s1, 0
	s_cbranch_scc1 .LBB7_208
; %bb.207:                              ;   in Loop: Header=BB7_209 Depth=2
	s_sleep 1
	s_cbranch_execnz .LBB7_209
	s_branch .LBB7_211
	.p2align	6
.LBB7_208:                              ;   in Loop: Header=BB7_140 Depth=1
	s_branch .LBB7_211
.LBB7_209:                              ;   Parent Loop BB7_140 Depth=1
                                        ; =>  This Inner Loop Header: Depth=2
	v_mov_b32_e32 v4, 1
	s_and_saveexec_b32 s1, s0
	s_cbranch_execz .LBB7_206
; %bb.210:                              ;   in Loop: Header=BB7_209 Depth=2
	global_load_b32 v4, v[29:30], off offset:20 glc
	s_waitcnt vmcnt(0)
	buffer_gl1_inv
	buffer_gl0_inv
	v_and_b32_e32 v4, 1, v4
	s_branch .LBB7_206
.LBB7_211:                              ;   in Loop: Header=BB7_140 Depth=1
	global_load_b128 v[2:5], v[2:3], off
	s_and_saveexec_b32 s1, s0
	s_cbranch_execz .LBB7_139
; %bb.212:                              ;   in Loop: Header=BB7_140 Depth=1
	s_clause 0x2
	global_load_b64 v[4:5], v6, s[2:3] offset:40
	global_load_b64 v[13:14], v6, s[2:3] offset:24 glc
	global_load_b64 v[11:12], v6, s[2:3]
	s_waitcnt vmcnt(2)
	v_add_co_u32 v15, vcc_lo, v4, 1
	v_add_co_ci_u32_e32 v16, vcc_lo, 0, v5, vcc_lo
	s_delay_alu instid0(VALU_DEP_2) | instskip(NEXT) | instid1(VALU_DEP_2)
	v_add_co_u32 v9, vcc_lo, v15, s12
	v_add_co_ci_u32_e32 v10, vcc_lo, s13, v16, vcc_lo
	s_delay_alu instid0(VALU_DEP_1) | instskip(SKIP_1) | instid1(VALU_DEP_1)
	v_cmp_eq_u64_e32 vcc_lo, 0, v[9:10]
	v_dual_cndmask_b32 v10, v10, v16 :: v_dual_cndmask_b32 v9, v9, v15
	v_and_b32_e32 v5, v10, v5
	s_delay_alu instid0(VALU_DEP_2) | instskip(NEXT) | instid1(VALU_DEP_2)
	v_and_b32_e32 v4, v9, v4
	v_mul_lo_u32 v5, v5, 24
	s_delay_alu instid0(VALU_DEP_2) | instskip(SKIP_1) | instid1(VALU_DEP_2)
	v_mul_hi_u32 v15, v4, 24
	v_mul_lo_u32 v4, v4, 24
	v_add_nc_u32_e32 v5, v15, v5
	s_waitcnt vmcnt(0)
	s_delay_alu instid0(VALU_DEP_2) | instskip(SKIP_1) | instid1(VALU_DEP_3)
	v_add_co_u32 v4, vcc_lo, v11, v4
	v_mov_b32_e32 v11, v13
	v_add_co_ci_u32_e32 v5, vcc_lo, v12, v5, vcc_lo
	v_mov_b32_e32 v12, v14
	global_store_b64 v[4:5], v[13:14], off
	s_waitcnt_vscnt null, 0x0
	global_atomic_cmpswap_b64 v[11:12], v6, v[9:12], s[2:3] offset:24 glc
	s_waitcnt vmcnt(0)
	v_cmp_ne_u64_e32 vcc_lo, v[11:12], v[13:14]
	s_and_b32 exec_lo, exec_lo, vcc_lo
	s_cbranch_execz .LBB7_139
; %bb.213:                              ;   in Loop: Header=BB7_140 Depth=1
	s_mov_b32 s0, 0
.LBB7_214:                              ;   Parent Loop BB7_140 Depth=1
                                        ; =>  This Inner Loop Header: Depth=2
	s_sleep 1
	global_store_b64 v[4:5], v[11:12], off
	s_waitcnt_vscnt null, 0x0
	global_atomic_cmpswap_b64 v[13:14], v6, v[9:12], s[2:3] offset:24 glc
	s_waitcnt vmcnt(0)
	v_cmp_eq_u64_e32 vcc_lo, v[13:14], v[11:12]
	v_dual_mov_b32 v11, v13 :: v_dual_mov_b32 v12, v14
	s_or_b32 s0, vcc_lo, s0
	s_delay_alu instid0(SALU_CYCLE_1)
	s_and_not1_b32 exec_lo, exec_lo, s0
	s_cbranch_execnz .LBB7_214
	s_branch .LBB7_139
.LBB7_215:
                                        ; implicit-def: $vgpr2_vgpr3
	s_cbranch_execnz .LBB7_217
	s_branch .LBB7_244
.LBB7_216:
	s_branch .LBB7_244
.LBB7_217:
	v_readfirstlane_b32 s0, v32
	v_mov_b32_e32 v8, 0
	v_mov_b32_e32 v9, 0
	s_delay_alu instid0(VALU_DEP_3) | instskip(NEXT) | instid1(VALU_DEP_1)
	v_cmp_eq_u32_e64 s0, s0, v32
	s_and_saveexec_b32 s1, s0
	s_cbranch_execz .LBB7_223
; %bb.218:
	s_waitcnt vmcnt(0)
	v_mov_b32_e32 v2, 0
	s_mov_b32 s4, exec_lo
	global_load_b64 v[5:6], v2, s[2:3] offset:24 glc
	s_waitcnt vmcnt(0)
	buffer_gl1_inv
	buffer_gl0_inv
	s_clause 0x1
	global_load_b64 v[3:4], v2, s[2:3] offset:40
	global_load_b64 v[7:8], v2, s[2:3]
	s_waitcnt vmcnt(1)
	v_and_b32_e32 v3, v3, v5
	v_and_b32_e32 v4, v4, v6
	s_delay_alu instid0(VALU_DEP_2) | instskip(NEXT) | instid1(VALU_DEP_2)
	v_mul_hi_u32 v9, v3, 24
	v_mul_lo_u32 v4, v4, 24
	v_mul_lo_u32 v3, v3, 24
	s_delay_alu instid0(VALU_DEP_2) | instskip(SKIP_1) | instid1(VALU_DEP_2)
	v_add_nc_u32_e32 v4, v9, v4
	s_waitcnt vmcnt(0)
	v_add_co_u32 v3, vcc_lo, v7, v3
	s_delay_alu instid0(VALU_DEP_2)
	v_add_co_ci_u32_e32 v4, vcc_lo, v8, v4, vcc_lo
	global_load_b64 v[3:4], v[3:4], off glc
	s_waitcnt vmcnt(0)
	global_atomic_cmpswap_b64 v[8:9], v2, v[3:6], s[2:3] offset:24 glc
	s_waitcnt vmcnt(0)
	buffer_gl1_inv
	buffer_gl0_inv
	v_cmpx_ne_u64_e64 v[8:9], v[5:6]
	s_cbranch_execz .LBB7_222
; %bb.219:
	s_mov_b32 s5, 0
	.p2align	6
.LBB7_220:                              ; =>This Inner Loop Header: Depth=1
	s_sleep 1
	s_clause 0x1
	global_load_b64 v[3:4], v2, s[2:3] offset:40
	global_load_b64 v[10:11], v2, s[2:3]
	v_dual_mov_b32 v5, v8 :: v_dual_mov_b32 v6, v9
	s_waitcnt vmcnt(1)
	s_delay_alu instid0(VALU_DEP_1) | instskip(NEXT) | instid1(VALU_DEP_2)
	v_and_b32_e32 v3, v3, v5
	v_and_b32_e32 v4, v4, v6
	s_waitcnt vmcnt(0)
	s_delay_alu instid0(VALU_DEP_2) | instskip(NEXT) | instid1(VALU_DEP_1)
	v_mad_u64_u32 v[7:8], null, v3, 24, v[10:11]
	v_mov_b32_e32 v3, v8
	s_delay_alu instid0(VALU_DEP_1)
	v_mad_u64_u32 v[8:9], null, v4, 24, v[3:4]
	global_load_b64 v[3:4], v[7:8], off glc
	s_waitcnt vmcnt(0)
	global_atomic_cmpswap_b64 v[8:9], v2, v[3:6], s[2:3] offset:24 glc
	s_waitcnt vmcnt(0)
	buffer_gl1_inv
	buffer_gl0_inv
	v_cmp_eq_u64_e32 vcc_lo, v[8:9], v[5:6]
	s_or_b32 s5, vcc_lo, s5
	s_delay_alu instid0(SALU_CYCLE_1)
	s_and_not1_b32 exec_lo, exec_lo, s5
	s_cbranch_execnz .LBB7_220
; %bb.221:
	s_or_b32 exec_lo, exec_lo, s5
.LBB7_222:
	s_delay_alu instid0(SALU_CYCLE_1)
	s_or_b32 exec_lo, exec_lo, s4
.LBB7_223:
	s_delay_alu instid0(SALU_CYCLE_1)
	s_or_b32 exec_lo, exec_lo, s1
	s_waitcnt vmcnt(0)
	v_mov_b32_e32 v2, 0
	v_readfirstlane_b32 s4, v8
	v_readfirstlane_b32 s5, v9
	s_mov_b32 s1, exec_lo
	s_clause 0x1
	global_load_b64 v[10:11], v2, s[2:3] offset:40
	global_load_b128 v[4:7], v2, s[2:3]
	s_waitcnt vmcnt(1)
	v_readfirstlane_b32 s6, v10
	v_readfirstlane_b32 s7, v11
	s_delay_alu instid0(VALU_DEP_1) | instskip(NEXT) | instid1(SALU_CYCLE_1)
	s_and_b64 s[6:7], s[4:5], s[6:7]
	s_mul_i32 s10, s7, 24
	s_mul_hi_u32 s11, s6, 24
	s_mul_i32 s12, s6, 24
	s_add_i32 s11, s11, s10
	s_waitcnt vmcnt(0)
	v_add_co_u32 v8, vcc_lo, v4, s12
	v_add_co_ci_u32_e32 v9, vcc_lo, s11, v5, vcc_lo
	s_and_saveexec_b32 s10, s0
	s_cbranch_execz .LBB7_225
; %bb.224:
	v_dual_mov_b32 v10, s1 :: v_dual_mov_b32 v11, v2
	v_dual_mov_b32 v12, 2 :: v_dual_mov_b32 v13, 1
	global_store_b128 v[8:9], v[10:13], off offset:8
.LBB7_225:
	s_or_b32 exec_lo, exec_lo, s10
	s_lshl_b64 s[6:7], s[6:7], 12
	s_mov_b32 s12, 0
	v_add_co_u32 v6, vcc_lo, v6, s6
	v_add_co_ci_u32_e32 v7, vcc_lo, s7, v7, vcc_lo
	s_mov_b32 s13, s12
	s_delay_alu instid0(VALU_DEP_2)
	v_readfirstlane_b32 s6, v6
	v_add_co_u32 v6, vcc_lo, v6, v31
	s_mov_b32 s14, s12
	s_mov_b32 s15, s12
	v_and_or_b32 v0, 0xffffff1f, v0, 32
	v_dual_mov_b32 v3, v2 :: v_dual_mov_b32 v10, s12
	v_readfirstlane_b32 s7, v7
	v_add_co_ci_u32_e32 v7, vcc_lo, 0, v7, vcc_lo
	v_dual_mov_b32 v11, s13 :: v_dual_mov_b32 v12, s14
	v_mov_b32_e32 v13, s15
	s_clause 0x3
	global_store_b128 v31, v[0:3], s[6:7]
	global_store_b128 v31, v[10:13], s[6:7] offset:16
	global_store_b128 v31, v[10:13], s[6:7] offset:32
	;; [unrolled: 1-line block ×3, first 2 shown]
	s_and_saveexec_b32 s1, s0
	s_cbranch_execz .LBB7_233
; %bb.226:
	v_dual_mov_b32 v10, 0 :: v_dual_mov_b32 v11, s4
	v_mov_b32_e32 v12, s5
	s_clause 0x1
	global_load_b64 v[13:14], v10, s[2:3] offset:32 glc
	global_load_b64 v[0:1], v10, s[2:3] offset:40
	s_waitcnt vmcnt(0)
	v_readfirstlane_b32 s6, v0
	v_readfirstlane_b32 s7, v1
	s_delay_alu instid0(VALU_DEP_1) | instskip(NEXT) | instid1(SALU_CYCLE_1)
	s_and_b64 s[6:7], s[6:7], s[4:5]
	s_mul_i32 s7, s7, 24
	s_mul_hi_u32 s10, s6, 24
	s_mul_i32 s6, s6, 24
	s_add_i32 s10, s10, s7
	v_add_co_u32 v4, vcc_lo, v4, s6
	v_add_co_ci_u32_e32 v5, vcc_lo, s10, v5, vcc_lo
	s_mov_b32 s6, exec_lo
	global_store_b64 v[4:5], v[13:14], off
	s_waitcnt_vscnt null, 0x0
	global_atomic_cmpswap_b64 v[2:3], v10, v[11:14], s[2:3] offset:32 glc
	s_waitcnt vmcnt(0)
	v_cmpx_ne_u64_e64 v[2:3], v[13:14]
	s_cbranch_execz .LBB7_229
; %bb.227:
	s_mov_b32 s7, 0
.LBB7_228:                              ; =>This Inner Loop Header: Depth=1
	v_dual_mov_b32 v0, s4 :: v_dual_mov_b32 v1, s5
	s_sleep 1
	global_store_b64 v[4:5], v[2:3], off
	s_waitcnt_vscnt null, 0x0
	global_atomic_cmpswap_b64 v[0:1], v10, v[0:3], s[2:3] offset:32 glc
	s_waitcnt vmcnt(0)
	v_cmp_eq_u64_e32 vcc_lo, v[0:1], v[2:3]
	v_dual_mov_b32 v3, v1 :: v_dual_mov_b32 v2, v0
	s_or_b32 s7, vcc_lo, s7
	s_delay_alu instid0(SALU_CYCLE_1)
	s_and_not1_b32 exec_lo, exec_lo, s7
	s_cbranch_execnz .LBB7_228
.LBB7_229:
	s_or_b32 exec_lo, exec_lo, s6
	v_mov_b32_e32 v3, 0
	s_mov_b32 s7, exec_lo
	s_mov_b32 s6, exec_lo
	v_mbcnt_lo_u32_b32 v2, s7, 0
	global_load_b64 v[0:1], v3, s[2:3] offset:16
	v_cmpx_eq_u32_e32 0, v2
	s_cbranch_execz .LBB7_231
; %bb.230:
	s_bcnt1_i32_b32 s7, s7
	s_delay_alu instid0(SALU_CYCLE_1)
	v_mov_b32_e32 v2, s7
	s_waitcnt vmcnt(0)
	global_atomic_add_u64 v[0:1], v[2:3], off offset:8
.LBB7_231:
	s_or_b32 exec_lo, exec_lo, s6
	s_waitcnt vmcnt(0)
	global_load_b64 v[2:3], v[0:1], off offset:16
	s_waitcnt vmcnt(0)
	v_cmp_eq_u64_e32 vcc_lo, 0, v[2:3]
	s_cbranch_vccnz .LBB7_233
; %bb.232:
	global_load_b32 v0, v[0:1], off offset:24
	s_waitcnt vmcnt(0)
	v_dual_mov_b32 v1, 0 :: v_dual_and_b32 v4, 0xffffff, v0
	s_waitcnt_vscnt null, 0x0
	global_store_b64 v[2:3], v[0:1], off
	v_readfirstlane_b32 m0, v4
	s_sendmsg sendmsg(MSG_INTERRUPT)
.LBB7_233:
	s_or_b32 exec_lo, exec_lo, s1
	s_branch .LBB7_237
	.p2align	6
.LBB7_234:                              ;   in Loop: Header=BB7_237 Depth=1
	s_or_b32 exec_lo, exec_lo, s1
	s_delay_alu instid0(VALU_DEP_1) | instskip(NEXT) | instid1(VALU_DEP_1)
	v_readfirstlane_b32 s1, v0
	s_cmp_eq_u32 s1, 0
	s_cbranch_scc1 .LBB7_236
; %bb.235:                              ;   in Loop: Header=BB7_237 Depth=1
	s_sleep 1
	s_cbranch_execnz .LBB7_237
	s_branch .LBB7_239
	.p2align	6
.LBB7_236:
	s_branch .LBB7_239
.LBB7_237:                              ; =>This Inner Loop Header: Depth=1
	v_mov_b32_e32 v0, 1
	s_and_saveexec_b32 s1, s0
	s_cbranch_execz .LBB7_234
; %bb.238:                              ;   in Loop: Header=BB7_237 Depth=1
	global_load_b32 v0, v[8:9], off offset:20 glc
	s_waitcnt vmcnt(0)
	buffer_gl1_inv
	buffer_gl0_inv
	v_and_b32_e32 v0, 1, v0
	s_branch .LBB7_234
.LBB7_239:
	global_load_b64 v[2:3], v[6:7], off
	s_and_saveexec_b32 s1, s0
	s_cbranch_execz .LBB7_243
; %bb.240:
	v_mov_b32_e32 v8, 0
	s_clause 0x2
	global_load_b64 v[0:1], v8, s[2:3] offset:40
	global_load_b64 v[9:10], v8, s[2:3] offset:24 glc
	global_load_b64 v[6:7], v8, s[2:3]
	s_waitcnt vmcnt(2)
	v_add_co_u32 v11, vcc_lo, v0, 1
	v_add_co_ci_u32_e32 v12, vcc_lo, 0, v1, vcc_lo
	s_delay_alu instid0(VALU_DEP_2) | instskip(NEXT) | instid1(VALU_DEP_2)
	v_add_co_u32 v4, vcc_lo, v11, s4
	v_add_co_ci_u32_e32 v5, vcc_lo, s5, v12, vcc_lo
	s_delay_alu instid0(VALU_DEP_1) | instskip(SKIP_1) | instid1(VALU_DEP_1)
	v_cmp_eq_u64_e32 vcc_lo, 0, v[4:5]
	v_dual_cndmask_b32 v5, v5, v12 :: v_dual_cndmask_b32 v4, v4, v11
	v_and_b32_e32 v1, v5, v1
	s_delay_alu instid0(VALU_DEP_2) | instskip(NEXT) | instid1(VALU_DEP_2)
	v_and_b32_e32 v0, v4, v0
	v_mul_lo_u32 v1, v1, 24
	s_delay_alu instid0(VALU_DEP_2) | instskip(SKIP_1) | instid1(VALU_DEP_2)
	v_mul_hi_u32 v11, v0, 24
	v_mul_lo_u32 v0, v0, 24
	v_add_nc_u32_e32 v1, v11, v1
	s_waitcnt vmcnt(0)
	s_delay_alu instid0(VALU_DEP_2) | instskip(SKIP_1) | instid1(VALU_DEP_3)
	v_add_co_u32 v0, vcc_lo, v6, v0
	v_mov_b32_e32 v6, v9
	v_add_co_ci_u32_e32 v1, vcc_lo, v7, v1, vcc_lo
	v_mov_b32_e32 v7, v10
	global_store_b64 v[0:1], v[9:10], off
	s_waitcnt_vscnt null, 0x0
	global_atomic_cmpswap_b64 v[6:7], v8, v[4:7], s[2:3] offset:24 glc
	s_waitcnt vmcnt(0)
	v_cmp_ne_u64_e32 vcc_lo, v[6:7], v[9:10]
	s_and_b32 exec_lo, exec_lo, vcc_lo
	s_cbranch_execz .LBB7_243
; %bb.241:
	s_mov_b32 s0, 0
.LBB7_242:                              ; =>This Inner Loop Header: Depth=1
	s_sleep 1
	global_store_b64 v[0:1], v[6:7], off
	s_waitcnt_vscnt null, 0x0
	global_atomic_cmpswap_b64 v[9:10], v8, v[4:7], s[2:3] offset:24 glc
	s_waitcnt vmcnt(0)
	v_cmp_eq_u64_e32 vcc_lo, v[9:10], v[6:7]
	v_dual_mov_b32 v6, v9 :: v_dual_mov_b32 v7, v10
	s_or_b32 s0, vcc_lo, s0
	s_delay_alu instid0(SALU_CYCLE_1)
	s_and_not1_b32 exec_lo, exec_lo, s0
	s_cbranch_execnz .LBB7_242
.LBB7_243:
	s_or_b32 exec_lo, exec_lo, s1
.LBB7_244:
	v_readfirstlane_b32 s0, v32
	s_waitcnt vmcnt(0)
	v_mov_b32_e32 v0, 0
	v_mov_b32_e32 v1, 0
	s_delay_alu instid0(VALU_DEP_3) | instskip(NEXT) | instid1(VALU_DEP_1)
	v_cmp_eq_u32_e64 s0, s0, v32
	s_and_saveexec_b32 s1, s0
	s_cbranch_execz .LBB7_250
; %bb.245:
	v_mov_b32_e32 v4, 0
	s_mov_b32 s4, exec_lo
	global_load_b64 v[7:8], v4, s[2:3] offset:24 glc
	s_waitcnt vmcnt(0)
	buffer_gl1_inv
	buffer_gl0_inv
	s_clause 0x1
	global_load_b64 v[0:1], v4, s[2:3] offset:40
	global_load_b64 v[5:6], v4, s[2:3]
	s_waitcnt vmcnt(1)
	v_and_b32_e32 v1, v1, v8
	v_and_b32_e32 v0, v0, v7
	s_delay_alu instid0(VALU_DEP_2) | instskip(NEXT) | instid1(VALU_DEP_2)
	v_mul_lo_u32 v1, v1, 24
	v_mul_hi_u32 v9, v0, 24
	v_mul_lo_u32 v0, v0, 24
	s_delay_alu instid0(VALU_DEP_2) | instskip(SKIP_1) | instid1(VALU_DEP_2)
	v_add_nc_u32_e32 v1, v9, v1
	s_waitcnt vmcnt(0)
	v_add_co_u32 v0, vcc_lo, v5, v0
	s_delay_alu instid0(VALU_DEP_2)
	v_add_co_ci_u32_e32 v1, vcc_lo, v6, v1, vcc_lo
	global_load_b64 v[5:6], v[0:1], off glc
	s_waitcnt vmcnt(0)
	global_atomic_cmpswap_b64 v[0:1], v4, v[5:8], s[2:3] offset:24 glc
	s_waitcnt vmcnt(0)
	buffer_gl1_inv
	buffer_gl0_inv
	v_cmpx_ne_u64_e64 v[0:1], v[7:8]
	s_cbranch_execz .LBB7_249
; %bb.246:
	s_mov_b32 s5, 0
	.p2align	6
.LBB7_247:                              ; =>This Inner Loop Header: Depth=1
	s_sleep 1
	s_clause 0x1
	global_load_b64 v[5:6], v4, s[2:3] offset:40
	global_load_b64 v[9:10], v4, s[2:3]
	v_dual_mov_b32 v8, v1 :: v_dual_mov_b32 v7, v0
	s_waitcnt vmcnt(1)
	s_delay_alu instid0(VALU_DEP_1) | instskip(SKIP_1) | instid1(VALU_DEP_1)
	v_and_b32_e32 v5, v5, v7
	s_waitcnt vmcnt(0)
	v_mad_u64_u32 v[0:1], null, v5, 24, v[9:10]
	v_and_b32_e32 v9, v6, v8
	s_delay_alu instid0(VALU_DEP_1) | instskip(NEXT) | instid1(VALU_DEP_1)
	v_mad_u64_u32 v[5:6], null, v9, 24, v[1:2]
	v_mov_b32_e32 v1, v5
	global_load_b64 v[5:6], v[0:1], off glc
	s_waitcnt vmcnt(0)
	global_atomic_cmpswap_b64 v[0:1], v4, v[5:8], s[2:3] offset:24 glc
	s_waitcnt vmcnt(0)
	buffer_gl1_inv
	buffer_gl0_inv
	v_cmp_eq_u64_e32 vcc_lo, v[0:1], v[7:8]
	s_or_b32 s5, vcc_lo, s5
	s_delay_alu instid0(SALU_CYCLE_1)
	s_and_not1_b32 exec_lo, exec_lo, s5
	s_cbranch_execnz .LBB7_247
; %bb.248:
	s_or_b32 exec_lo, exec_lo, s5
.LBB7_249:
	s_delay_alu instid0(SALU_CYCLE_1)
	s_or_b32 exec_lo, exec_lo, s4
.LBB7_250:
	s_delay_alu instid0(SALU_CYCLE_1)
	s_or_b32 exec_lo, exec_lo, s1
	v_mov_b32_e32 v5, 0
	v_readfirstlane_b32 s4, v0
	v_readfirstlane_b32 s5, v1
	s_mov_b32 s1, exec_lo
	s_clause 0x1
	global_load_b64 v[10:11], v5, s[2:3] offset:40
	global_load_b128 v[6:9], v5, s[2:3]
	s_waitcnt vmcnt(1)
	v_readfirstlane_b32 s6, v10
	v_readfirstlane_b32 s7, v11
	s_delay_alu instid0(VALU_DEP_1) | instskip(NEXT) | instid1(SALU_CYCLE_1)
	s_and_b64 s[6:7], s[4:5], s[6:7]
	s_mul_i32 s10, s7, 24
	s_mul_hi_u32 s11, s6, 24
	s_mul_i32 s12, s6, 24
	s_add_i32 s11, s11, s10
	s_waitcnt vmcnt(0)
	v_add_co_u32 v10, vcc_lo, v6, s12
	v_add_co_ci_u32_e32 v11, vcc_lo, s11, v7, vcc_lo
	s_and_saveexec_b32 s10, s0
	s_cbranch_execz .LBB7_252
; %bb.251:
	v_dual_mov_b32 v4, s1 :: v_dual_mov_b32 v15, 1
	v_dual_mov_b32 v14, 2 :: v_dual_mov_b32 v13, v5
	s_delay_alu instid0(VALU_DEP_2)
	v_mov_b32_e32 v12, v4
	global_store_b128 v[10:11], v[12:15], off offset:8
.LBB7_252:
	s_or_b32 exec_lo, exec_lo, s10
	s_lshl_b64 s[6:7], s[6:7], 12
	s_mov_b32 s12, 0
	v_add_co_u32 v0, vcc_lo, v8, s6
	v_add_co_ci_u32_e32 v1, vcc_lo, s7, v9, vcc_lo
	s_mov_b32 s13, s12
	s_delay_alu instid0(VALU_DEP_2)
	v_add_co_u32 v8, vcc_lo, v0, v31
	s_mov_b32 s14, s12
	s_mov_b32 s15, s12
	v_and_or_b32 v2, 0xffffff1f, v2, 32
	v_mov_b32_e32 v4, 0x41
	v_readfirstlane_b32 s6, v0
	v_readfirstlane_b32 s7, v1
	v_dual_mov_b32 v12, s12 :: v_dual_mov_b32 v15, s15
	v_add_co_ci_u32_e32 v9, vcc_lo, 0, v1, vcc_lo
	v_dual_mov_b32 v13, s13 :: v_dual_mov_b32 v14, s14
	s_clause 0x3
	global_store_b128 v31, v[2:5], s[6:7]
	global_store_b128 v31, v[12:15], s[6:7] offset:16
	global_store_b128 v31, v[12:15], s[6:7] offset:32
	global_store_b128 v31, v[12:15], s[6:7] offset:48
	s_and_saveexec_b32 s1, s0
	s_cbranch_execz .LBB7_260
; %bb.253:
	v_dual_mov_b32 v12, 0 :: v_dual_mov_b32 v13, s4
	v_mov_b32_e32 v14, s5
	s_clause 0x1
	global_load_b64 v[15:16], v12, s[2:3] offset:32 glc
	global_load_b64 v[0:1], v12, s[2:3] offset:40
	s_waitcnt vmcnt(0)
	v_readfirstlane_b32 s6, v0
	v_readfirstlane_b32 s7, v1
	s_delay_alu instid0(VALU_DEP_1) | instskip(NEXT) | instid1(SALU_CYCLE_1)
	s_and_b64 s[6:7], s[6:7], s[4:5]
	s_mul_i32 s7, s7, 24
	s_mul_hi_u32 s10, s6, 24
	s_mul_i32 s6, s6, 24
	s_add_i32 s10, s10, s7
	v_add_co_u32 v4, vcc_lo, v6, s6
	v_add_co_ci_u32_e32 v5, vcc_lo, s10, v7, vcc_lo
	s_mov_b32 s6, exec_lo
	global_store_b64 v[4:5], v[15:16], off
	s_waitcnt_vscnt null, 0x0
	global_atomic_cmpswap_b64 v[2:3], v12, v[13:16], s[2:3] offset:32 glc
	s_waitcnt vmcnt(0)
	v_cmpx_ne_u64_e64 v[2:3], v[15:16]
	s_cbranch_execz .LBB7_256
; %bb.254:
	s_mov_b32 s7, 0
.LBB7_255:                              ; =>This Inner Loop Header: Depth=1
	v_dual_mov_b32 v0, s4 :: v_dual_mov_b32 v1, s5
	s_sleep 1
	global_store_b64 v[4:5], v[2:3], off
	s_waitcnt_vscnt null, 0x0
	global_atomic_cmpswap_b64 v[0:1], v12, v[0:3], s[2:3] offset:32 glc
	s_waitcnt vmcnt(0)
	v_cmp_eq_u64_e32 vcc_lo, v[0:1], v[2:3]
	v_dual_mov_b32 v3, v1 :: v_dual_mov_b32 v2, v0
	s_or_b32 s7, vcc_lo, s7
	s_delay_alu instid0(SALU_CYCLE_1)
	s_and_not1_b32 exec_lo, exec_lo, s7
	s_cbranch_execnz .LBB7_255
.LBB7_256:
	s_or_b32 exec_lo, exec_lo, s6
	v_mov_b32_e32 v3, 0
	s_mov_b32 s7, exec_lo
	s_mov_b32 s6, exec_lo
	v_mbcnt_lo_u32_b32 v2, s7, 0
	global_load_b64 v[0:1], v3, s[2:3] offset:16
	v_cmpx_eq_u32_e32 0, v2
	s_cbranch_execz .LBB7_258
; %bb.257:
	s_bcnt1_i32_b32 s7, s7
	s_delay_alu instid0(SALU_CYCLE_1)
	v_mov_b32_e32 v2, s7
	s_waitcnt vmcnt(0)
	global_atomic_add_u64 v[0:1], v[2:3], off offset:8
.LBB7_258:
	s_or_b32 exec_lo, exec_lo, s6
	s_waitcnt vmcnt(0)
	global_load_b64 v[2:3], v[0:1], off offset:16
	s_waitcnt vmcnt(0)
	v_cmp_eq_u64_e32 vcc_lo, 0, v[2:3]
	s_cbranch_vccnz .LBB7_260
; %bb.259:
	global_load_b32 v0, v[0:1], off offset:24
	s_waitcnt vmcnt(0)
	v_dual_mov_b32 v1, 0 :: v_dual_and_b32 v4, 0xffffff, v0
	s_waitcnt_vscnt null, 0x0
	global_store_b64 v[2:3], v[0:1], off
	v_readfirstlane_b32 m0, v4
	s_sendmsg sendmsg(MSG_INTERRUPT)
.LBB7_260:
	s_or_b32 exec_lo, exec_lo, s1
	s_branch .LBB7_264
	.p2align	6
.LBB7_261:                              ;   in Loop: Header=BB7_264 Depth=1
	s_or_b32 exec_lo, exec_lo, s1
	s_delay_alu instid0(VALU_DEP_1) | instskip(NEXT) | instid1(VALU_DEP_1)
	v_readfirstlane_b32 s1, v0
	s_cmp_eq_u32 s1, 0
	s_cbranch_scc1 .LBB7_263
; %bb.262:                              ;   in Loop: Header=BB7_264 Depth=1
	s_sleep 1
	s_cbranch_execnz .LBB7_264
	s_branch .LBB7_266
	.p2align	6
.LBB7_263:
	s_branch .LBB7_266
.LBB7_264:                              ; =>This Inner Loop Header: Depth=1
	v_mov_b32_e32 v0, 1
	s_and_saveexec_b32 s1, s0
	s_cbranch_execz .LBB7_261
; %bb.265:                              ;   in Loop: Header=BB7_264 Depth=1
	global_load_b32 v0, v[10:11], off offset:20 glc
	s_waitcnt vmcnt(0)
	buffer_gl1_inv
	buffer_gl0_inv
	v_and_b32_e32 v0, 1, v0
	s_branch .LBB7_261
.LBB7_266:
	global_load_b64 v[0:1], v[8:9], off
	s_and_saveexec_b32 s1, s0
	s_cbranch_execz .LBB7_270
; %bb.267:
	v_mov_b32_e32 v8, 0
	s_clause 0x2
	global_load_b64 v[4:5], v8, s[2:3] offset:40
	global_load_b64 v[9:10], v8, s[2:3] offset:24 glc
	global_load_b64 v[6:7], v8, s[2:3]
	s_waitcnt vmcnt(2)
	v_add_co_u32 v11, vcc_lo, v4, 1
	v_add_co_ci_u32_e32 v12, vcc_lo, 0, v5, vcc_lo
	s_delay_alu instid0(VALU_DEP_2) | instskip(NEXT) | instid1(VALU_DEP_2)
	v_add_co_u32 v2, vcc_lo, v11, s4
	v_add_co_ci_u32_e32 v3, vcc_lo, s5, v12, vcc_lo
	s_delay_alu instid0(VALU_DEP_1) | instskip(SKIP_1) | instid1(VALU_DEP_1)
	v_cmp_eq_u64_e32 vcc_lo, 0, v[2:3]
	v_dual_cndmask_b32 v3, v3, v12 :: v_dual_cndmask_b32 v2, v2, v11
	v_and_b32_e32 v5, v3, v5
	s_delay_alu instid0(VALU_DEP_2) | instskip(NEXT) | instid1(VALU_DEP_2)
	v_and_b32_e32 v4, v2, v4
	v_mul_lo_u32 v5, v5, 24
	s_delay_alu instid0(VALU_DEP_2) | instskip(SKIP_1) | instid1(VALU_DEP_2)
	v_mul_hi_u32 v11, v4, 24
	v_mul_lo_u32 v4, v4, 24
	v_add_nc_u32_e32 v5, v11, v5
	s_waitcnt vmcnt(0)
	s_delay_alu instid0(VALU_DEP_2) | instskip(SKIP_1) | instid1(VALU_DEP_3)
	v_add_co_u32 v6, vcc_lo, v6, v4
	v_mov_b32_e32 v4, v9
	v_add_co_ci_u32_e32 v7, vcc_lo, v7, v5, vcc_lo
	v_mov_b32_e32 v5, v10
	global_store_b64 v[6:7], v[9:10], off
	s_waitcnt_vscnt null, 0x0
	global_atomic_cmpswap_b64 v[4:5], v8, v[2:5], s[2:3] offset:24 glc
	s_waitcnt vmcnt(0)
	v_cmp_ne_u64_e32 vcc_lo, v[4:5], v[9:10]
	s_and_b32 exec_lo, exec_lo, vcc_lo
	s_cbranch_execz .LBB7_270
; %bb.268:
	s_mov_b32 s0, 0
.LBB7_269:                              ; =>This Inner Loop Header: Depth=1
	s_sleep 1
	global_store_b64 v[6:7], v[4:5], off
	s_waitcnt_vscnt null, 0x0
	global_atomic_cmpswap_b64 v[9:10], v8, v[2:5], s[2:3] offset:24 glc
	s_waitcnt vmcnt(0)
	v_cmp_eq_u64_e32 vcc_lo, v[9:10], v[4:5]
	v_dual_mov_b32 v4, v9 :: v_dual_mov_b32 v5, v10
	s_or_b32 s0, vcc_lo, s0
	s_delay_alu instid0(SALU_CYCLE_1)
	s_and_not1_b32 exec_lo, exec_lo, s0
	s_cbranch_execnz .LBB7_269
.LBB7_270:
	s_or_b32 exec_lo, exec_lo, s1
	s_getpc_b64 s[0:1]
	s_add_u32 s0, s0, __FUNCTION__._ZL18flash_attn_ext_vecILi64ELi1EL9ggml_type30ELS0_1ELb1EEvPKcS2_S2_S2_S2_PKiPfP15HIP_vector_typeIfLj2EEffffjfiS6_IjLj3EEiiiiiiiiiiiliiliiiiil@rel32@lo+4
	s_addc_u32 s1, s1, __FUNCTION__._ZL18flash_attn_ext_vecILi64ELi1EL9ggml_type30ELS0_1ELb1EEvPKcS2_S2_S2_S2_PKiPfP15HIP_vector_typeIfLj2EEffffjfiS6_IjLj3EEiiiiiiiiiiiliiliiiiil@rel32@hi+12
	s_delay_alu instid0(SALU_CYCLE_1) | instskip(SKIP_3) | instid1(SALU_CYCLE_1)
	v_dual_mov_b32 v2, s0 :: v_dual_mov_b32 v3, s1
	s_cmp_lg_u64 s[0:1], 0
	s_mov_b64 s[16:17], s[8:9]
	s_cselect_b32 s4, 19, 0
	v_dual_mov_b32 v5, 0 :: v_dual_mov_b32 v4, s4
	s_getpc_b64 s[2:3]
	s_add_u32 s2, s2, __ockl_printf_append_string_n@rel32@lo+4
	s_addc_u32 s3, s3, __ockl_printf_append_string_n@rel32@hi+12
	s_delay_alu instid0(SALU_CYCLE_1)
	s_swappc_b64 s[30:31], s[2:3]
	v_dual_mov_b32 v2, 0x514 :: v_dual_mov_b32 v3, 0
	v_mov_b32_e32 v4, 1
	s_mov_b64 s[8:9], s[16:17]
	s_getpc_b64 s[0:1]
	s_add_u32 s0, s0, __ockl_printf_append_args@rel32@lo+4
	s_addc_u32 s1, s1, __ockl_printf_append_args@rel32@hi+12
	s_delay_alu instid0(SALU_CYCLE_1)
	s_swappc_b64 s[30:31], s[0:1]
	s_trap 2
	s_sendmsg_rtn_b32 s0, sendmsg(MSG_RTN_GET_DOORBELL)
	s_mov_b32 ttmp2, m0
	s_waitcnt lgkmcnt(0)
	s_and_b32 s0, s0, 0x3ff
	s_delay_alu instid0(SALU_CYCLE_1) | instskip(NEXT) | instid1(SALU_CYCLE_1)
	s_bitset1_b32 s0, 10
	s_mov_b32 m0, s0
	s_sendmsg sendmsg(MSG_INTERRUPT)
	s_mov_b32 m0, ttmp2
.LBB7_271:                              ; =>This Inner Loop Header: Depth=1
	s_sethalt 5
	s_branch .LBB7_271
.Lfunc_end7:
	.size	_ZL14no_device_codePKciS0_iS0_, .Lfunc_end7-_ZL14no_device_codePKciS0_iS0_
                                        ; -- End function
	.section	.AMDGPU.csdata,"",@progbits
; Function info:
; codeLenInByte = 10544
; NumSgprs: 36
; NumVgprs: 37
; ScratchSize: 16
; MemoryBound: 0
	.section	.text._ZL18flash_attn_ext_vecILi64ELi1EL9ggml_type30ELS0_1ELb1EEvPKcS2_S2_S2_S2_PKiPfP15HIP_vector_typeIfLj2EEffffjfiS6_IjLj3EEiiiiiiiiiiiliiliiiiil,"axG",@progbits,_ZL18flash_attn_ext_vecILi64ELi1EL9ggml_type30ELS0_1ELb1EEvPKcS2_S2_S2_S2_PKiPfP15HIP_vector_typeIfLj2EEffffjfiS6_IjLj3EEiiiiiiiiiiiliiliiiiil,comdat
	.globl	_ZL18flash_attn_ext_vecILi64ELi1EL9ggml_type30ELS0_1ELb1EEvPKcS2_S2_S2_S2_PKiPfP15HIP_vector_typeIfLj2EEffffjfiS6_IjLj3EEiiiiiiiiiiiliiliiiiil ; -- Begin function _ZL18flash_attn_ext_vecILi64ELi1EL9ggml_type30ELS0_1ELb1EEvPKcS2_S2_S2_S2_PKiPfP15HIP_vector_typeIfLj2EEffffjfiS6_IjLj3EEiiiiiiiiiiiliiliiiiil
	.p2align	8
	.type	_ZL18flash_attn_ext_vecILi64ELi1EL9ggml_type30ELS0_1ELb1EEvPKcS2_S2_S2_S2_PKiPfP15HIP_vector_typeIfLj2EEffffjfiS6_IjLj3EEiiiiiiiiiiiliiliiiiil,@function
_ZL18flash_attn_ext_vecILi64ELi1EL9ggml_type30ELS0_1ELb1EEvPKcS2_S2_S2_S2_PKiPfP15HIP_vector_typeIfLj2EEffffjfiS6_IjLj3EEiiiiiiiiiiiliiliiiiil: ; @_ZL18flash_attn_ext_vecILi64ELi1EL9ggml_type30ELS0_1ELb1EEvPKcS2_S2_S2_S2_PKiPfP15HIP_vector_typeIfLj2EEffffjfiS6_IjLj3EEiiiiiiiiiiiliiliiiiil
; %bb.0:
	s_add_u32 s8, s0, 0xd0
	s_addc_u32 s9, s1, 0
	s_mov_b32 s32, 0
	s_getpc_b64 s[0:1]
	s_add_u32 s0, s0, _ZL14no_device_codePKciS0_iS0_@rel32@lo+4
	s_addc_u32 s1, s1, _ZL14no_device_codePKciS0_iS0_@rel32@hi+12
	s_delay_alu instid0(SALU_CYCLE_1)
	s_swappc_b64 s[30:31], s[0:1]
	.section	.rodata,"a",@progbits
	.p2align	6, 0x0
	.amdhsa_kernel _ZL18flash_attn_ext_vecILi64ELi1EL9ggml_type30ELS0_1ELb1EEvPKcS2_S2_S2_S2_PKiPfP15HIP_vector_typeIfLj2EEffffjfiS6_IjLj3EEiiiiiiiiiiiliiliiiiil
		.amdhsa_group_segment_fixed_size 0
		.amdhsa_private_segment_fixed_size 16
		.amdhsa_kernarg_size 464
		.amdhsa_user_sgpr_count 15
		.amdhsa_user_sgpr_dispatch_ptr 0
		.amdhsa_user_sgpr_queue_ptr 0
		.amdhsa_user_sgpr_kernarg_segment_ptr 1
		.amdhsa_user_sgpr_dispatch_id 0
		.amdhsa_user_sgpr_private_segment_size 0
		.amdhsa_wavefront_size32 1
		.amdhsa_uses_dynamic_stack 0
		.amdhsa_enable_private_segment 1
		.amdhsa_system_sgpr_workgroup_id_x 1
		.amdhsa_system_sgpr_workgroup_id_y 0
		.amdhsa_system_sgpr_workgroup_id_z 0
		.amdhsa_system_sgpr_workgroup_info 0
		.amdhsa_system_vgpr_workitem_id 0
		.amdhsa_next_free_vgpr 37
		.amdhsa_next_free_sgpr 34
		.amdhsa_reserve_vcc 1
		.amdhsa_float_round_mode_32 0
		.amdhsa_float_round_mode_16_64 0
		.amdhsa_float_denorm_mode_32 3
		.amdhsa_float_denorm_mode_16_64 3
		.amdhsa_dx10_clamp 1
		.amdhsa_ieee_mode 1
		.amdhsa_fp16_overflow 0
		.amdhsa_workgroup_processor_mode 1
		.amdhsa_memory_ordered 1
		.amdhsa_forward_progress 0
		.amdhsa_shared_vgpr_count 0
		.amdhsa_exception_fp_ieee_invalid_op 0
		.amdhsa_exception_fp_denorm_src 0
		.amdhsa_exception_fp_ieee_div_zero 0
		.amdhsa_exception_fp_ieee_overflow 0
		.amdhsa_exception_fp_ieee_underflow 0
		.amdhsa_exception_fp_ieee_inexact 0
		.amdhsa_exception_int_div_zero 0
	.end_amdhsa_kernel
	.section	.text._ZL18flash_attn_ext_vecILi64ELi1EL9ggml_type30ELS0_1ELb1EEvPKcS2_S2_S2_S2_PKiPfP15HIP_vector_typeIfLj2EEffffjfiS6_IjLj3EEiiiiiiiiiiiliiliiiiil,"axG",@progbits,_ZL18flash_attn_ext_vecILi64ELi1EL9ggml_type30ELS0_1ELb1EEvPKcS2_S2_S2_S2_PKiPfP15HIP_vector_typeIfLj2EEffffjfiS6_IjLj3EEiiiiiiiiiiiliiliiiiil,comdat
.Lfunc_end8:
	.size	_ZL18flash_attn_ext_vecILi64ELi1EL9ggml_type30ELS0_1ELb1EEvPKcS2_S2_S2_S2_PKiPfP15HIP_vector_typeIfLj2EEffffjfiS6_IjLj3EEiiiiiiiiiiiliiliiiiil, .Lfunc_end8-_ZL18flash_attn_ext_vecILi64ELi1EL9ggml_type30ELS0_1ELb1EEvPKcS2_S2_S2_S2_PKiPfP15HIP_vector_typeIfLj2EEffffjfiS6_IjLj3EEiiiiiiiiiiiliiliiiiil
                                        ; -- End function
	.section	.AMDGPU.csdata,"",@progbits
; Kernel info:
; codeLenInByte = 44
; NumSgprs: 36
; NumVgprs: 37
; ScratchSize: 16
; MemoryBound: 0
; FloatMode: 240
; IeeeMode: 1
; LDSByteSize: 0 bytes/workgroup (compile time only)
; SGPRBlocks: 4
; VGPRBlocks: 4
; NumSGPRsForWavesPerEU: 36
; NumVGPRsForWavesPerEU: 37
; Occupancy: 16
; WaveLimiterHint : 1
; COMPUTE_PGM_RSRC2:SCRATCH_EN: 1
; COMPUTE_PGM_RSRC2:USER_SGPR: 15
; COMPUTE_PGM_RSRC2:TRAP_HANDLER: 0
; COMPUTE_PGM_RSRC2:TGID_X_EN: 1
; COMPUTE_PGM_RSRC2:TGID_Y_EN: 0
; COMPUTE_PGM_RSRC2:TGID_Z_EN: 0
; COMPUTE_PGM_RSRC2:TIDIG_COMP_CNT: 0
	.section	.text._ZL18flash_attn_ext_vecILi64ELi2EL9ggml_type30ELS0_1ELb0EEvPKcS2_S2_S2_S2_PKiPfP15HIP_vector_typeIfLj2EEffffjfiS6_IjLj3EEiiiiiiiiiiiliiliiiiil,"axG",@progbits,_ZL18flash_attn_ext_vecILi64ELi2EL9ggml_type30ELS0_1ELb0EEvPKcS2_S2_S2_S2_PKiPfP15HIP_vector_typeIfLj2EEffffjfiS6_IjLj3EEiiiiiiiiiiiliiliiiiil,comdat
	.globl	_ZL18flash_attn_ext_vecILi64ELi2EL9ggml_type30ELS0_1ELb0EEvPKcS2_S2_S2_S2_PKiPfP15HIP_vector_typeIfLj2EEffffjfiS6_IjLj3EEiiiiiiiiiiiliiliiiiil ; -- Begin function _ZL18flash_attn_ext_vecILi64ELi2EL9ggml_type30ELS0_1ELb0EEvPKcS2_S2_S2_S2_PKiPfP15HIP_vector_typeIfLj2EEffffjfiS6_IjLj3EEiiiiiiiiiiiliiliiiiil
	.p2align	8
	.type	_ZL18flash_attn_ext_vecILi64ELi2EL9ggml_type30ELS0_1ELb0EEvPKcS2_S2_S2_S2_PKiPfP15HIP_vector_typeIfLj2EEffffjfiS6_IjLj3EEiiiiiiiiiiiliiliiiiil,@function
_ZL18flash_attn_ext_vecILi64ELi2EL9ggml_type30ELS0_1ELb0EEvPKcS2_S2_S2_S2_PKiPfP15HIP_vector_typeIfLj2EEffffjfiS6_IjLj3EEiiiiiiiiiiiliiliiiiil: ; @_ZL18flash_attn_ext_vecILi64ELi2EL9ggml_type30ELS0_1ELb0EEvPKcS2_S2_S2_S2_PKiPfP15HIP_vector_typeIfLj2EEffffjfiS6_IjLj3EEiiiiiiiiiiiliiliiiiil
; %bb.0:
	s_clause 0x2
	s_load_b64 s[34:35], s[2:3], 0x64
	s_load_b64 s[40:41], s[2:3], 0x80
	;; [unrolled: 1-line block ×3, first 2 shown]
	v_mov_b32_e32 v52, 1.0
	s_waitcnt lgkmcnt(0)
	v_cvt_f32_u32_e32 v1, s35
	s_sub_i32 s5, 0, s35
	s_delay_alu instid0(VALU_DEP_1) | instskip(SKIP_2) | instid1(VALU_DEP_1)
	v_rcp_iflag_f32_e32 v1, v1
	s_waitcnt_depctr 0xfff
	v_mul_f32_e32 v1, 0x4f7ffffe, v1
	v_cvt_u32_f32_e32 v1, v1
	s_delay_alu instid0(VALU_DEP_1) | instskip(NEXT) | instid1(VALU_DEP_1)
	v_readfirstlane_b32 s4, v1
	s_mul_i32 s5, s5, s4
	s_delay_alu instid0(SALU_CYCLE_1) | instskip(NEXT) | instid1(SALU_CYCLE_1)
	s_mul_hi_u32 s5, s4, s5
	s_add_i32 s4, s4, s5
	s_delay_alu instid0(SALU_CYCLE_1) | instskip(NEXT) | instid1(SALU_CYCLE_1)
	s_mul_hi_u32 s4, s15, s4
	s_mul_i32 s5, s4, s35
	s_add_i32 s6, s4, 1
	s_sub_i32 s5, s15, s5
	s_delay_alu instid0(SALU_CYCLE_1)
	s_sub_i32 s7, s5, s35
	s_cmp_ge_u32 s5, s35
	s_cselect_b32 s4, s6, s4
	s_cselect_b32 s5, s7, s5
	s_add_i32 s6, s4, 1
	s_cmp_ge_u32 s5, s35
	s_cselect_b32 s33, s6, s4
	s_abs_i32 s4, s41
	s_abs_i32 s8, s35
	v_cvt_f32_u32_e32 v1, s4
	s_sub_i32 s6, 0, s4
	s_xor_b32 s7, s35, s41
	s_delay_alu instid0(SALU_CYCLE_1) | instskip(NEXT) | instid1(VALU_DEP_1)
	s_ashr_i32 s7, s7, 31
	v_rcp_iflag_f32_e32 v1, v1
	s_waitcnt_depctr 0xfff
	v_mul_f32_e32 v1, 0x4f7ffffe, v1
	s_delay_alu instid0(VALU_DEP_1) | instskip(NEXT) | instid1(VALU_DEP_1)
	v_cvt_u32_f32_e32 v1, v1
	v_readfirstlane_b32 s5, v1
	s_delay_alu instid0(VALU_DEP_1) | instskip(NEXT) | instid1(SALU_CYCLE_1)
	s_mul_i32 s6, s6, s5
	s_mul_hi_u32 s6, s5, s6
	s_delay_alu instid0(SALU_CYCLE_1) | instskip(SKIP_4) | instid1(SALU_CYCLE_1)
	s_add_i32 s5, s5, s6
	s_mul_i32 s6, s33, s35
	s_mul_hi_u32 s5, s8, s5
	s_sub_i32 s12, s15, s6
	s_mul_i32 s9, s5, s4
	s_sub_i32 s6, s8, s9
	s_add_i32 s8, s5, 1
	s_sub_i32 s9, s6, s4
	s_cmp_ge_u32 s6, s4
	s_cselect_b32 s5, s8, s5
	s_cselect_b32 s6, s9, s6
	s_add_i32 s8, s5, 1
	s_cmp_ge_u32 s6, s4
	s_cselect_b32 s4, s8, s5
	s_abs_i32 s45, s42
	s_xor_b32 s4, s4, s7
	v_cvt_f32_u32_e32 v1, s45
	s_sub_i32 s47, s4, s7
	s_clause 0x1
	s_load_b128 s[8:11], s[2:3], 0x40
	s_load_b32 s4, s[2:3], 0x50
	s_abs_i32 s46, s47
	v_rcp_iflag_f32_e32 v1, v1
	v_cvt_f32_u32_e32 v2, s46
	s_delay_alu instid0(VALU_DEP_1) | instskip(SKIP_2) | instid1(VALU_DEP_1)
	v_rcp_iflag_f32_e32 v2, v2
	s_waitcnt_depctr 0xfff
	v_mul_f32_e32 v1, 0x4f7ffffe, v1
	v_cvt_u32_f32_e32 v1, v1
	v_mul_f32_e32 v2, 0x4f7ffffe, v2
	s_waitcnt lgkmcnt(0)
	v_cmp_le_f32_e64 s5, s9, 0
	s_delay_alu instid0(VALU_DEP_3) | instskip(NEXT) | instid1(VALU_DEP_3)
	v_readfirstlane_b32 s9, v1
	v_cvt_u32_f32_e32 v2, v2
	s_delay_alu instid0(VALU_DEP_3) | instskip(NEXT) | instid1(VALU_DEP_1)
	s_and_b32 vcc_lo, exec_lo, s5
	v_readfirstlane_b32 s48, v2
	s_cbranch_vccnz .LBB9_2
; %bb.1:
	s_sub_i32 s5, s12, s4
	s_add_i32 s6, s12, 1
	s_lshl_b32 s5, s5, 1
	v_mov_b32_e32 v1, s10
	s_or_b32 s5, s5, 1
	s_cmp_lt_u32 s12, s4
	s_cselect_b32 vcc_lo, -1, 0
	s_delay_alu instid0(VALU_DEP_1)
	v_cndmask_b32_e32 v3, s11, v1, vcc_lo
	s_and_b32 s4, vcc_lo, exec_lo
	s_cselect_b32 s4, s6, s5
	s_mov_b32 s5, 0x3e76c4e1
	v_cvt_f32_i32_e32 v1, s4
	v_cmp_neq_f32_e32 vcc_lo, 1.0, v3
	s_delay_alu instid0(VALU_DEP_2) | instskip(NEXT) | instid1(VALU_DEP_1)
	v_cndmask_b32_e32 v4, 1.0, v1, vcc_lo
	v_cmp_eq_f32_e32 vcc_lo, 0, v4
	v_cndmask_b32_e64 v5, |v3|, 1.0, vcc_lo
	s_delay_alu instid0(VALU_DEP_1) | instskip(NEXT) | instid1(VALU_DEP_1)
	v_frexp_mant_f32_e32 v1, v5
	v_cmp_gt_f32_e64 s4, 0x3f2aaaab, v1
	s_delay_alu instid0(VALU_DEP_1) | instskip(NEXT) | instid1(VALU_DEP_1)
	v_cndmask_b32_e64 v2, 1.0, 2.0, s4
	v_mul_f32_e32 v1, v1, v2
	s_delay_alu instid0(VALU_DEP_1) | instskip(SKIP_1) | instid1(VALU_DEP_2)
	v_add_f32_e32 v2, 1.0, v1
	v_add_f32_e32 v7, -1.0, v1
	v_rcp_f32_e32 v6, v2
	s_waitcnt_depctr 0xfff
	v_mul_f32_e32 v8, v7, v6
	s_delay_alu instid0(VALU_DEP_1) | instskip(NEXT) | instid1(VALU_DEP_1)
	v_dual_add_f32 v9, -1.0, v2 :: v_dual_mul_f32 v10, v2, v8
	v_sub_f32_e32 v1, v1, v9
	v_cndmask_b32_e64 v3, v3, 1.0, vcc_lo
	s_delay_alu instid0(VALU_DEP_3) | instskip(NEXT) | instid1(VALU_DEP_2)
	v_fma_f32 v2, v8, v2, -v10
	v_cmp_eq_f32_e64 s6, 0, v3
	s_delay_alu instid0(VALU_DEP_2) | instskip(NEXT) | instid1(VALU_DEP_1)
	v_fmac_f32_e32 v2, v8, v1
	v_add_f32_e32 v1, v10, v2
	s_delay_alu instid0(VALU_DEP_1) | instskip(NEXT) | instid1(VALU_DEP_1)
	v_dual_sub_f32 v10, v1, v10 :: v_dual_sub_f32 v9, v7, v1
	v_dual_sub_f32 v2, v10, v2 :: v_dual_sub_f32 v7, v7, v9
	s_delay_alu instid0(VALU_DEP_1) | instskip(NEXT) | instid1(VALU_DEP_1)
	v_sub_f32_e32 v1, v7, v1
	v_add_f32_e32 v1, v2, v1
	s_delay_alu instid0(VALU_DEP_1) | instskip(NEXT) | instid1(VALU_DEP_1)
	v_add_f32_e32 v1, v9, v1
	v_mul_f32_e32 v1, v6, v1
	s_delay_alu instid0(VALU_DEP_1) | instskip(NEXT) | instid1(VALU_DEP_1)
	v_add_f32_e32 v6, v8, v1
	v_sub_f32_e32 v2, v6, v8
	v_mul_f32_e32 v7, v6, v6
	s_delay_alu instid0(VALU_DEP_2) | instskip(NEXT) | instid1(VALU_DEP_2)
	v_sub_f32_e32 v8, v1, v2
	v_fma_f32 v9, v6, v6, -v7
	s_delay_alu instid0(VALU_DEP_2) | instskip(NEXT) | instid1(VALU_DEP_1)
	v_add_f32_e32 v1, v8, v8
	v_fmac_f32_e32 v9, v6, v1
	v_cvt_f64_f32_e32 v[1:2], v5
	s_delay_alu instid0(VALU_DEP_2) | instskip(NEXT) | instid1(VALU_DEP_1)
	v_add_f32_e32 v10, v7, v9
	v_fmaak_f32 v11, s5, v10, 0x3e91f4c4
	v_sub_f32_e32 v7, v10, v7
	v_mul_f32_e32 v14, v6, v10
	s_delay_alu instid0(VALU_DEP_3) | instskip(NEXT) | instid1(VALU_DEP_3)
	v_fmaak_f32 v11, v10, v11, 0x3ecccdef
	v_sub_f32_e32 v7, v9, v7
	s_delay_alu instid0(VALU_DEP_2) | instskip(NEXT) | instid1(VALU_DEP_1)
	v_mul_f32_e32 v12, v10, v11
	v_fma_f32 v9, v10, v11, -v12
	s_delay_alu instid0(VALU_DEP_1) | instskip(NEXT) | instid1(VALU_DEP_1)
	v_fmac_f32_e32 v9, v7, v11
	v_add_f32_e32 v11, v12, v9
	v_frexp_exp_i32_f64_e32 v1, v[1:2]
	s_delay_alu instid0(VALU_DEP_2) | instskip(NEXT) | instid1(VALU_DEP_1)
	v_sub_f32_e32 v12, v11, v12
	v_sub_f32_e32 v2, v9, v12
	v_fma_f32 v12, v10, v6, -v14
	s_delay_alu instid0(VALU_DEP_2) | instskip(NEXT) | instid1(VALU_DEP_2)
	v_add_f32_e32 v2, 0x31739010, v2
	v_dual_add_f32 v13, 0x3f2aaaaa, v11 :: v_dual_fmac_f32 v12, v10, v8
	v_ldexp_f32 v8, v8, 1
	s_delay_alu instid0(VALU_DEP_2) | instskip(NEXT) | instid1(VALU_DEP_1)
	v_dual_add_f32 v9, 0xbf2aaaaa, v13 :: v_dual_fmac_f32 v12, v7, v6
	v_sub_f32_e32 v9, v11, v9
	s_delay_alu instid0(VALU_DEP_1) | instskip(NEXT) | instid1(VALU_DEP_3)
	v_add_f32_e32 v2, v2, v9
	v_add_f32_e32 v9, v14, v12
	s_delay_alu instid0(VALU_DEP_2) | instskip(NEXT) | instid1(VALU_DEP_1)
	v_add_f32_e32 v7, v13, v2
	v_sub_f32_e32 v10, v13, v7
	s_delay_alu instid0(VALU_DEP_3) | instskip(SKIP_2) | instid1(VALU_DEP_4)
	v_mul_f32_e32 v11, v9, v7
	v_sub_f32_e32 v13, v9, v14
	v_subrev_co_ci_u32_e64 v1, s4, 0, v1, s4
	v_add_f32_e32 v2, v2, v10
	s_delay_alu instid0(VALU_DEP_4) | instskip(NEXT) | instid1(VALU_DEP_4)
	v_fma_f32 v10, v9, v7, -v11
	v_sub_f32_e32 v12, v12, v13
	s_delay_alu instid0(VALU_DEP_4) | instskip(NEXT) | instid1(VALU_DEP_3)
	v_cvt_f32_i32_e32 v1, v1
	v_fmac_f32_e32 v10, v9, v2
	v_ldexp_f32 v2, v6, 1
	s_delay_alu instid0(VALU_DEP_2) | instskip(NEXT) | instid1(VALU_DEP_1)
	v_fmac_f32_e32 v10, v12, v7
	v_add_f32_e32 v6, v11, v10
	s_delay_alu instid0(VALU_DEP_1) | instskip(NEXT) | instid1(VALU_DEP_1)
	v_add_f32_e32 v7, v2, v6
	v_dual_sub_f32 v2, v7, v2 :: v_dual_sub_f32 v9, v6, v11
	s_delay_alu instid0(VALU_DEP_1) | instskip(NEXT) | instid1(VALU_DEP_2)
	v_sub_f32_e32 v2, v6, v2
	v_sub_f32_e32 v9, v10, v9
	s_delay_alu instid0(VALU_DEP_1) | instskip(NEXT) | instid1(VALU_DEP_1)
	v_add_f32_e32 v6, v8, v9
	v_dual_mul_f32 v11, 0x3f317218, v1 :: v_dual_add_f32 v2, v6, v2
	s_delay_alu instid0(VALU_DEP_1) | instskip(NEXT) | instid1(VALU_DEP_2)
	v_fma_f32 v10, 0x3f317218, v1, -v11
	v_add_f32_e32 v8, v7, v2
	s_delay_alu instid0(VALU_DEP_1) | instskip(NEXT) | instid1(VALU_DEP_1)
	v_sub_f32_e32 v7, v8, v7
	v_dual_fmamk_f32 v1, v1, 0xb102e308, v10 :: v_dual_sub_f32 v2, v2, v7
	s_delay_alu instid0(VALU_DEP_1) | instskip(NEXT) | instid1(VALU_DEP_1)
	v_add_f32_e32 v6, v11, v1
	v_add_f32_e32 v9, v6, v8
	s_delay_alu instid0(VALU_DEP_1) | instskip(NEXT) | instid1(VALU_DEP_1)
	v_dual_sub_f32 v11, v6, v11 :: v_dual_sub_f32 v10, v9, v6
	v_sub_f32_e32 v12, v9, v10
	s_delay_alu instid0(VALU_DEP_2) | instskip(NEXT) | instid1(VALU_DEP_2)
	v_sub_f32_e32 v1, v1, v11
	v_dual_sub_f32 v7, v8, v10 :: v_dual_sub_f32 v6, v6, v12
	s_delay_alu instid0(VALU_DEP_2) | instskip(NEXT) | instid1(VALU_DEP_2)
	v_add_f32_e32 v8, v1, v2
	v_add_f32_e32 v6, v7, v6
	s_delay_alu instid0(VALU_DEP_1) | instskip(NEXT) | instid1(VALU_DEP_1)
	v_add_f32_e32 v6, v8, v6
	v_dual_sub_f32 v7, v8, v1 :: v_dual_add_f32 v10, v9, v6
	s_delay_alu instid0(VALU_DEP_1) | instskip(SKIP_1) | instid1(VALU_DEP_3)
	v_sub_f32_e32 v8, v8, v7
	v_sub_f32_e32 v2, v2, v7
	;; [unrolled: 1-line block ×3, first 2 shown]
	s_delay_alu instid0(VALU_DEP_3) | instskip(NEXT) | instid1(VALU_DEP_1)
	v_sub_f32_e32 v1, v1, v8
	v_add_f32_e32 v1, v2, v1
	s_delay_alu instid0(VALU_DEP_3) | instskip(NEXT) | instid1(VALU_DEP_1)
	v_sub_f32_e32 v2, v6, v7
	v_add_f32_e32 v1, v1, v2
	s_delay_alu instid0(VALU_DEP_1) | instskip(NEXT) | instid1(VALU_DEP_1)
	v_add_f32_e32 v2, v10, v1
	v_mul_f32_e32 v7, v4, v2
	v_sub_f32_e32 v6, v2, v10
	s_delay_alu instid0(VALU_DEP_2) | instskip(NEXT) | instid1(VALU_DEP_2)
	v_fma_f32 v2, v4, v2, -v7
	v_sub_f32_e32 v1, v1, v6
	v_cmp_class_f32_e64 s4, v7, 0x204
	s_delay_alu instid0(VALU_DEP_2) | instskip(NEXT) | instid1(VALU_DEP_1)
	v_fmac_f32_e32 v2, v4, v1
	v_add_f32_e32 v1, v7, v2
	s_delay_alu instid0(VALU_DEP_1) | instskip(NEXT) | instid1(VALU_DEP_1)
	v_cndmask_b32_e64 v6, v1, v7, s4
	v_cmp_eq_f32_e64 s4, 0x42b17218, v6
	s_delay_alu instid0(VALU_DEP_1) | instskip(SKIP_1) | instid1(VALU_DEP_2)
	v_cndmask_b32_e64 v8, 0, 0x37000000, s4
	v_cmp_neq_f32_e64 s4, 0x7f800000, |v6|
	v_sub_f32_e32 v9, v6, v8
	v_trunc_f32_e32 v6, v4
	s_delay_alu instid0(VALU_DEP_2) | instskip(NEXT) | instid1(VALU_DEP_1)
	v_mul_f32_e32 v10, 0x3fb8aa3b, v9
	v_fma_f32 v11, 0x3fb8aa3b, v9, -v10
	v_rndne_f32_e32 v12, v10
	s_delay_alu instid0(VALU_DEP_1) | instskip(NEXT) | instid1(VALU_DEP_1)
	v_dual_fmamk_f32 v11, v9, 0x32a5705f, v11 :: v_dual_sub_f32 v10, v10, v12
	v_add_f32_e32 v10, v10, v11
	v_sub_f32_e32 v1, v1, v7
	v_cvt_i32_f32_e32 v7, v12
	s_delay_alu instid0(VALU_DEP_3) | instskip(NEXT) | instid1(VALU_DEP_2)
	v_exp_f32_e32 v10, v10
	v_sub_f32_e32 v1, v2, v1
	s_delay_alu instid0(VALU_DEP_1)
	v_cndmask_b32_e64 v1, 0, v1, s4
	v_cmp_ngt_f32_e64 s4, 0xc2ce8ed0, v9
	s_waitcnt_depctr 0xfff
	v_ldexp_f32 v2, v10, v7
	v_mul_f32_e32 v7, 0.5, v4
	v_add_f32_e32 v1, v8, v1
	s_delay_alu instid0(VALU_DEP_3) | instskip(NEXT) | instid1(VALU_DEP_3)
	v_cndmask_b32_e64 v2, 0, v2, s4
	v_trunc_f32_e32 v10, v7
	v_cmp_nlt_f32_e64 s4, 0x42b17218, v9
	s_delay_alu instid0(VALU_DEP_2) | instskip(NEXT) | instid1(VALU_DEP_2)
	v_cmp_neq_f32_e64 s5, v10, v7
	v_cndmask_b32_e64 v2, 0x7f800000, v2, s4
	v_cmp_eq_f32_e64 s4, v6, v4
	s_delay_alu instid0(VALU_DEP_2) | instskip(NEXT) | instid1(VALU_DEP_2)
	v_fma_f32 v1, v2, v1, v2
	s_and_b32 vcc_lo, s4, s5
	v_cmp_class_f32_e64 s5, v2, 0x204
	v_cndmask_b32_e32 v6, 1.0, v3, vcc_lo
	s_delay_alu instid0(VALU_DEP_2) | instskip(SKIP_1) | instid1(VALU_DEP_2)
	v_cndmask_b32_e64 v1, v1, v2, s5
	v_cmp_gt_f32_e64 s5, 0, v4
	v_bfi_b32 v1, 0x7fffffff, v1, v6
	s_delay_alu instid0(VALU_DEP_2)
	s_xor_b32 s5, s5, s6
	v_cndmask_b32_e32 v6, 0, v3, vcc_lo
	v_cndmask_b32_e64 v2, 0x7f800000, 0, s5
	v_cmp_eq_f32_e32 vcc_lo, 0x7f800000, v5
	v_cndmask_b32_e64 v4, 0x7fc00000, v1, s4
	v_cmp_gt_f32_e64 s4, 0, v3
	s_delay_alu instid0(VALU_DEP_4) | instskip(SKIP_1) | instid1(VALU_DEP_2)
	v_bfi_b32 v2, 0x7fffffff, v2, v6
	s_or_b32 vcc_lo, vcc_lo, s6
	v_cndmask_b32_e64 v1, v1, v4, s4
	s_delay_alu instid0(VALU_DEP_1) | instskip(SKIP_1) | instid1(VALU_DEP_2)
	v_cndmask_b32_e32 v1, v1, v2, vcc_lo
	v_cmp_o_f32_e32 vcc_lo, v3, v3
	v_cndmask_b32_e32 v52, 0x7fc00000, v1, vcc_lo
.LBB9_2:
	s_load_b64 s[0:1], s[0:1], 0x4
	s_clause 0x1
	s_load_b128 s[4:7], s[2:3], 0x70
	s_load_b512 s[16:31], s[2:3], 0x0
	v_bfe_u32 v46, v0, 10, 10
	v_dual_mov_b32 v3, 0 :: v_dual_and_b32 v44, 0x3ff, v0
	v_bfe_u32 v0, v0, 20, 10
	s_lshl_b32 s15, s13, 1
	s_delay_alu instid0(VALU_DEP_2) | instskip(SKIP_2) | instid1(VALU_DEP_3)
	v_dual_mov_b32 v8, 0 :: v_dual_lshlrev_b32 v47, 2, v44
	v_dual_mov_b32 v4, 0 :: v_dual_mov_b32 v5, 0
	v_dual_mov_b32 v6, 0 :: v_dual_mov_b32 v7, 0
	v_and_b32_e32 v50, 28, v47
	s_waitcnt lgkmcnt(0)
	v_mul_u32_u24_e32 v1, s1, v46
	s_lshr_b32 s0, s0, 16
	s_mul_i32 s6, s33, s6
	s_mul_i32 s0, s0, s1
	;; [unrolled: 1-line block ×3, first 2 shown]
	v_mad_u32_u24 v1, s0, v44, v1
	s_mul_i32 s5, s12, s5
	s_add_i32 s6, s6, s7
	s_delay_alu instid0(SALU_CYCLE_1) | instskip(NEXT) | instid1(VALU_DEP_1)
	s_add_i32 s6, s6, s5
	v_add_lshl_u32 v16, v1, v0, 5
	s_ashr_i32 s1, s6, 31
	s_add_u32 s0, s16, s6
	s_addc_u32 s1, s17, s1
	s_cmp_lt_i32 s15, s34
	v_add_nc_u32_e32 v1, 0xa04, v16
	v_add_nc_u32_e32 v2, 0xa0c, v16
	;; [unrolled: 1-line block ×3, first 2 shown]
	s_cselect_b32 s6, -1, 0
	s_cmp_ge_i32 s15, s34
	v_add_nc_u32_e32 v10, 0x800, v16
	ds_store_2addr_b32 v1, v8, v8 offset1:1
	ds_store_2addr_b32 v2, v8, v8 offset1:1
	;; [unrolled: 1-line block ×3, first 2 shown]
	v_dual_mov_b32 v2, 0 :: v_dual_mov_b32 v9, 0
	v_dual_mov_b32 v1, 0 :: v_dual_lshlrev_b32 v0, 3, v50
	s_cselect_b32 s42, -1, 0
	ds_store_2addr_b32 v10, v8, v8 offset0:128 offset1:135
	s_and_b32 vcc_lo, exec_lo, s42
	s_cbranch_vccnz .LBB9_4
; %bb.3:
	s_clause 0x1
	global_load_b128 v[3:6], v0, s[0:1]
	global_load_b128 v[9:12], v0, s[0:1] offset:16
	s_waitcnt vmcnt(1)
	v_cvt_f16_f32_e32 v3, v3
	v_cvt_f16_f32_e32 v4, v4
	;; [unrolled: 1-line block ×4, first 2 shown]
	s_waitcnt vmcnt(0)
	v_cvt_f16_f32_e32 v7, v9
	v_cvt_f16_f32_e32 v9, v10
	;; [unrolled: 1-line block ×4, first 2 shown]
.LBB9_4:
	s_or_b32 s5, s15, 1
	v_dual_mov_b32 v10, 0 :: v_dual_mov_b32 v11, 0
	v_dual_mov_b32 v12, 0 :: v_dual_mov_b32 v13, 0
	;; [unrolled: 1-line block ×3, first 2 shown]
	v_mov_b32_e32 v17, 0
	s_cmp_lt_i32 s5, s34
	s_cselect_b32 s41, -1, 0
	s_cmp_ge_i32 s5, s34
	s_cbranch_scc1 .LBB9_6
; %bb.5:
	s_ashr_i32 s5, s4, 31
	s_add_u32 s0, s0, s4
	s_addc_u32 s1, s1, s5
	s_clause 0x1
	global_load_b128 v[10:13], v0, s[0:1]
	global_load_b128 v[17:20], v0, s[0:1] offset:16
	s_waitcnt vmcnt(1)
	v_cvt_f16_f32_e32 v8, v10
	v_cvt_f16_f32_e32 v10, v11
	;; [unrolled: 1-line block ×4, first 2 shown]
	s_waitcnt vmcnt(0)
	v_cvt_f16_f32_e32 v13, v17
	v_cvt_f16_f32_e32 v14, v18
	;; [unrolled: 1-line block ×4, first 2 shown]
.LBB9_6:
	s_cmp_eq_u64 s[26:27], 0
	s_mov_b32 s44, s40
	s_cbranch_scc1 .LBB9_8
; %bb.7:
	s_load_b32 s0, s[2:3], 0xd0
	s_mov_b32 s1, 0
	s_waitcnt lgkmcnt(0)
	s_mul_i32 s0, s0, s33
	s_delay_alu instid0(SALU_CYCLE_1) | instskip(NEXT) | instid1(SALU_CYCLE_1)
	s_add_i32 s0, s0, s13
	s_lshl_b64 s[0:1], s[0:1], 2
	s_delay_alu instid0(SALU_CYCLE_1)
	s_add_u32 s0, s26, s0
	s_addc_u32 s1, s27, s1
	s_load_b32 s44, s[0:1], 0x0
.LBB9_8:
	s_mov_b32 s0, 0
	s_mov_b32 s4, 0xfeffffff
	;; [unrolled: 1-line block ×3, first 2 shown]
	s_delay_alu instid0(SALU_CYCLE_1) | instskip(SKIP_2) | instid1(VALU_DEP_2)
	v_dual_mov_b32 v41, s1 :: v_dual_lshlrev_b32 v0, 5, v46
	s_mov_b32 s5, s4
	v_dual_mov_b32 v40, s0 :: v_dual_add_nc_u32 v49, 0xa00, v16
	v_add_nc_u32_e32 v45, v0, v44
	v_dual_mov_b32 v43, s5 :: v_dual_mov_b32 v42, s4
	v_mbcnt_lo_u32_b32 v51, -1, 0
	s_lshl_b32 s10, s14, 7
	s_delay_alu instid0(VALU_DEP_3)
	v_lshlrev_b32_e32 v48, 1, v45
	s_waitcnt lgkmcnt(0)
	s_cmp_ge_i32 s10, s44
	s_cbranch_scc1 .LBB9_45
; %bb.9:
	s_clause 0x1
	s_load_b64 s[26:27], s[2:3], 0x8c
	s_load_b128 s[36:39], s[2:3], 0x98
	v_cvt_f16_f32_e32 v16, s8
	v_perm_b32 v3, v4, v3, 0x5040100
	v_perm_b32 v4, v6, v5, 0x5040100
	;; [unrolled: 1-line block ×4, first 2 shown]
	v_xor_b32_e32 v6, 4, v51
	v_pk_mul_f16 v2, v16, v3 op_sel_hi:[0,1]
	v_pk_mul_f16 v3, v16, v4 op_sel_hi:[0,1]
	;; [unrolled: 1-line block ×3, first 2 shown]
	v_and_b32_e32 v5, 24, v51
	s_sub_i32 s4, 0, s45
	s_sub_i32 s1, 0, s46
	s_mul_i32 s4, s4, s9
	s_mul_i32 s1, s1, s48
	v_add_nc_u32_e32 v5, 8, v5
	s_mul_hi_u32 s4, s9, s4
	v_xor_b32_e32 v7, 2, v51
	s_add_i32 s9, s9, s4
	s_ashr_i32 s17, s33, 31
	v_cmp_lt_i32_e32 vcc_lo, v6, v5
	s_waitcnt lgkmcnt(0)
	s_mul_i32 s4, s33, s37
	s_mul_hi_u32 s5, s33, s36
	s_mul_hi_u32 s1, s48, s1
	s_ashr_i32 s16, s47, 31
	s_add_i32 s47, s5, s4
	s_mul_i32 s4, s17, s36
	s_abs_i32 s7, s12
	s_add_i32 s48, s48, s1
	v_perm_b32 v8, v10, v8, 0x5040100
	v_perm_b32 v10, v12, v11, 0x5040100
	;; [unrolled: 1-line block ×3, first 2 shown]
	s_add_i32 s47, s47, s4
	s_load_b64 s[4:5], s[2:3], 0xa8
	v_dual_mov_b32 v40, 0 :: v_dual_and_b32 v9, 0x78, v44
	v_xor_b32_e32 v13, 1, v51
	v_cndmask_b32_e32 v6, v51, v6, vcc_lo
	v_cmp_lt_i32_e32 vcc_lo, v7, v5
	s_mul_hi_u32 s11, s7, s48
	s_abs_i32 s1, s33
	s_mul_i32 s8, s11, s46
	s_mul_hi_u32 s13, s1, s9
	s_ashr_i32 s9, s12, 31
	s_sub_i32 s7, s7, s8
	v_dual_cndmask_b32 v7, v51, v7 :: v_dual_add_nc_u32 v14, v0, v9
	v_cmp_lt_i32_e32 vcc_lo, v13, v5
	s_xor_b32 s9, s9, s16
	s_add_i32 s8, s11, 1
	s_sub_i32 s16, s7, s46
	s_cmp_ge_u32 s7, s46
	v_dual_cndmask_b32 v5, v51, v13 :: v_dual_lshlrev_b32 v54, 2, v7
	s_cselect_b32 s8, s8, s11
	v_mul_lo_u32 v13, v14, s26
	s_cselect_b32 s7, s16, s7
	s_add_i32 s11, s8, 1
	s_cmp_ge_u32 s7, s46
	v_perm_b32 v12, v17, v15, 0x5040100
	s_cselect_b32 s7, s11, s8
	s_waitcnt lgkmcnt(0)
	s_mul_i32 s5, s33, s5
	s_xor_b32 s7, s7, s9
	v_add_nc_u32_e32 v17, s26, v13
	s_sub_i32 s50, s7, s9
	s_clause 0x1
	s_load_b64 s[8:9], s[2:3], 0xc8
	s_load_b32 s7, s[2:3], 0xd4
	s_mul_hi_u32 s11, s33, s4
	s_mul_i32 s13, s13, s45
	s_mul_i32 s46, s50, s27
	s_add_i32 s49, s11, s5
	s_mul_i32 s5, s17, s4
	s_mul_i32 s50, s50, s39
	s_sub_i32 s1, s1, s13
	v_pk_mul_f16 v8, v16, v8 op_sel_hi:[0,1]
	v_pk_mul_f16 v10, v16, v10 op_sel_hi:[0,1]
	;; [unrolled: 1-line block ×3, first 2 shown]
	v_dual_mov_b32 v116, 0xfeffffff :: v_dual_lshlrev_b32 v53, 2, v6
	v_lshrrev_b32_e32 v6, 16, v2
	v_cvt_f32_f16_e32 v56, v2
	v_lshrrev_b32_e32 v2, 16, v3
	v_dual_mov_b32 v115, 0xfeffffff :: v_dual_add_nc_u32 v18, s26, v17
	s_ashr_i32 s48, s46, 31
	s_add_i32 s49, s49, s5
	s_ashr_i32 s51, s50, 31
	s_sub_i32 s5, s1, s45
	s_cmp_ge_u32 s1, s45
	v_pk_mul_f16 v11, v16, v11 op_sel_hi:[0,1]
	s_cselect_b32 s1, s5, s1
	v_pk_mul_f16 v12, v16, v12 op_sel_hi:[0,1]
	v_cvt_f32_f16_e32 v58, v3
	v_lshrrev_b32_e32 v3, 16, v1
	v_cvt_f32_f16_e32 v59, v2
	v_cvt_f32_f16_e32 v62, v1
	v_lshrrev_b32_e32 v1, 16, v8
	v_lshrrev_b32_e32 v2, 16, v10
	v_add_nc_u32_e32 v19, s26, v18
	s_sub_i32 s5, s1, s45
	s_cmp_ge_u32 s1, s45
	v_cvt_f32_f16_e32 v65, v1
	s_cselect_b32 s1, s5, s1
	v_lshrrev_b32_e32 v1, 16, v11
	v_cvt_f32_f16_e32 v67, v2
	v_lshrrev_b32_e32 v2, 16, v12
	v_cvt_f32_f16_e32 v70, v12
	v_dual_mov_b32 v41, 0 :: v_dual_add_nc_u32 v12, s26, v19
	s_xor_b32 s1, s1, s17
	v_cvt_f32_f16_e32 v69, v1
	s_sub_i32 s1, s1, s17
	s_delay_alu instid0(VALU_DEP_2)
	v_add_nc_u32_e32 v21, s26, v12
	s_waitcnt lgkmcnt(0)
	s_mul_i32 s5, s1, s9
	s_mul_hi_u32 s9, s1, s8
	s_ashr_i32 s11, s1, 31
	v_xor_b32_e32 v1, 8, v51
	s_add_i32 s5, s9, s5
	s_mul_i32 s11, s11, s8
	s_mul_i32 s13, s15, s43
	s_add_i32 s54, s5, s11
	s_ashr_i32 s27, s13, 31
	s_cmp_lg_u64 s[22:23], 0
	v_cvt_f32_f16_e32 v64, v8
	v_add_nc_u32_e32 v24, s26, v21
	v_cmp_gt_i32_e32 vcc_lo, 32, v1
	v_add_nc_u32_e32 v8, s40, v14
	s_mul_i32 s55, s1, s8
	s_cselect_b32 s1, -1, 0
	s_mul_i32 s52, s10, s26
	v_cndmask_b32_e32 v1, v51, v1, vcc_lo
	v_cvt_f32_f16_e32 v66, v10
	v_cvt_f32_f16_e32 v71, v2
	v_xor_b32_e32 v2, 16, v51
	s_ashr_i32 s53, s40, 31
	v_add_co_u32 v10, s40, v14, s40
	s_mul_i32 s39, s33, s36
	s_lshl_b32 s16, s7, 7
	s_and_b32 s36, s1, s6
	s_and_b32 s37, s1, s41
	v_cvt_f32_f16_e32 v68, v11
	v_ashrrev_i32_e32 v9, 31, v8
	v_add_nc_u32_e32 v27, s26, v24
	v_add_co_ci_u32_e64 v11, null, 0, s53, s40
	s_add_u32 s40, s18, s52
	s_addc_u32 s56, s19, 0
	s_add_u32 s18, s40, s46
	s_mov_b32 s11, s0
	v_cmp_gt_i32_e32 vcc_lo, 32, v2
	s_addc_u32 s19, s56, s48
	s_add_u32 s57, s18, s39
	v_ashrrev_i32_e32 v29, 31, v27
	s_addc_u32 s58, s19, s47
	s_lshl_b64 s[52:53], s[10:11], 1
	v_lshlrev_b64 v[8:9], 1, v[8:9]
	s_add_u32 s11, s22, s52
	v_cndmask_b32_e32 v2, v51, v2, vcc_lo
	v_add_co_u32 v77, vcc_lo, s57, v27
	s_addc_u32 s18, s23, s53
	v_lshlrev_b32_e32 v55, 2, v5
	v_lshrrev_b32_e32 v5, 3, v44
	s_add_u32 s11, s11, s55
	v_add_co_ci_u32_e32 v78, vcc_lo, s58, v29, vcc_lo
	s_addc_u32 s59, s18, s54
	v_add_co_u32 v79, vcc_lo, s11, v8
	v_add_co_ci_u32_e32 v80, vcc_lo, s59, v9, vcc_lo
	v_lshlrev_b64 v[8:9], 1, v[10:11]
	v_add_nc_u32_e32 v30, v0, v5
	s_mov_b32 s17, s0
	v_lshlrev_b32_e32 v14, 1, v14
	s_lshl_b64 s[18:19], s[16:17], 1
	s_add_u32 s17, s55, s52
	v_add_co_u32 v83, vcc_lo, s11, v8
	v_mul_lo_u32 v8, s38, v30
	s_addc_u32 s52, s54, s53
	v_ashrrev_i32_e32 v28, 31, v24
	s_add_u32 s17, s22, s17
	s_mul_i32 s45, s33, s4
	s_addc_u32 s22, s23, s52
	v_add_co_u32 v81, s17, s17, v14
	v_add_co_ci_u32_e32 v84, vcc_lo, s59, v9, vcc_lo
	v_add_nc_u32_e32 v9, 4, v30
	s_mul_i32 s43, s10, s38
	v_ashrrev_i32_e32 v26, 31, v21
	v_add_co_u32 v85, vcc_lo, s57, v24
	s_add_u32 s11, s45, s50
	v_add_co_ci_u32_e64 v82, null, s22, 0, s17
	s_addc_u32 s17, s49, s51
	v_add_co_ci_u32_e32 v86, vcc_lo, s58, v28, vcc_lo
	s_add_u32 s20, s20, s43
	v_add_co_u32 v87, vcc_lo, s57, v21
	v_ashrrev_i32_e32 v10, 31, v8
	s_addc_u32 s21, s21, 0
	v_mul_lo_u32 v9, s38, v9
	s_add_u32 s11, s20, s11
	v_add_co_ci_u32_e32 v88, vcc_lo, s58, v26, vcc_lo
	s_addc_u32 s17, s21, s17
	v_add_co_u32 v89, vcc_lo, s11, v8
	v_add_co_ci_u32_e32 v90, vcc_lo, s17, v10, vcc_lo
	v_add_nc_u32_e32 v10, 8, v30
	s_add_u32 s11, s20, s50
	v_ashrrev_i32_e32 v8, 31, v9
	s_addc_u32 s17, s21, s51
	s_add_u32 s11, s11, s45
	v_mul_lo_u32 v10, s38, v10
	s_addc_u32 s17, s17, s49
	v_add_co_u32 v91, vcc_lo, s11, v9
	v_add_co_ci_u32_e32 v92, vcc_lo, s17, v8, vcc_lo
	v_add_nc_u32_e32 v8, 12, v30
	v_ashrrev_i32_e32 v25, 31, v12
	v_add_co_u32 v93, vcc_lo, s57, v12
	v_ashrrev_i32_e32 v9, 31, v10
	v_add_nc_u32_e32 v11, 16, v30
	v_mul_lo_u32 v8, s38, v8
	v_add_co_ci_u32_e32 v94, vcc_lo, s58, v25, vcc_lo
	v_add_co_u32 v95, vcc_lo, s11, v10
	v_add_co_ci_u32_e32 v96, vcc_lo, s17, v9, vcc_lo
	v_mul_lo_u32 v9, s38, v11
	v_ashrrev_i32_e32 v10, 31, v8
	v_add_nc_u32_e32 v11, 20, v30
	v_add_nc_u32_e32 v12, 24, v30
	v_add_co_u32 v97, vcc_lo, s11, v8
	s_delay_alu instid0(VALU_DEP_4) | instskip(SKIP_4) | instid1(VALU_DEP_4)
	v_add_co_ci_u32_e32 v98, vcc_lo, s17, v10, vcc_lo
	v_ashrrev_i32_e32 v8, 31, v9
	v_mul_lo_u32 v10, s38, v11
	v_add_co_u32 v99, vcc_lo, s11, v9
	v_mul_lo_u32 v11, s38, v12
	v_add_co_ci_u32_e32 v100, vcc_lo, s17, v8, vcc_lo
	v_add_nc_u32_e32 v8, 28, v30
	v_ashrrev_i32_e32 v23, 31, v19
	v_add_co_u32 v101, vcc_lo, s57, v19
	v_ashrrev_i32_e32 v9, 31, v10
	s_delay_alu instid0(VALU_DEP_4)
	v_mul_lo_u32 v8, s38, v8
	v_cvt_f32_f16_e32 v57, v6
	v_lshrrev_b32_e32 v6, 16, v4
	v_cvt_f32_f16_e32 v63, v3
	v_or_b32_e32 v3, v0, v5
	v_add_co_ci_u32_e32 v102, vcc_lo, s58, v23, vcc_lo
	v_ashrrev_i32_e32 v12, 31, v11
	v_add_co_u32 v103, vcc_lo, s11, v10
	v_add_co_ci_u32_e32 v104, vcc_lo, s17, v9, vcc_lo
	v_ashrrev_i32_e32 v22, 31, v18
	v_add_co_u32 v105, vcc_lo, s11, v11
	v_cvt_f32_f16_e32 v60, v4
	v_cvt_f32_f16_e32 v61, v6
	v_lshlrev_b32_e32 v72, 2, v1
	v_lshlrev_b32_e32 v73, 2, v2
	v_lshlrev_b32_e32 v74, 1, v3
	ds_load_b128 v[4:7], v49
	ds_load_b128 v[0:3], v49 offset:16
	v_add_co_ci_u32_e32 v106, vcc_lo, s17, v12, vcc_lo
	v_ashrrev_i32_e32 v9, 31, v8
	v_add_co_u32 v107, vcc_lo, s57, v18
	v_add_co_ci_u32_e32 v108, vcc_lo, s58, v22, vcc_lo
	v_add_co_u32 v109, vcc_lo, s11, v8
	s_add_u32 s11, s39, s46
	v_ashrrev_i32_e32 v16, 31, v13
	v_add_co_ci_u32_e32 v110, vcc_lo, s17, v9, vcc_lo
	s_addc_u32 s17, s47, s48
	s_add_u32 s11, s40, s11
	v_and_b32_e32 v15, 7, v44
	v_ashrrev_i32_e32 v20, 31, v17
	s_addc_u32 s17, s56, s17
	v_add_co_u32 v111, vcc_lo, s11, v13
	v_add_co_ci_u32_e32 v112, vcc_lo, s17, v16, vcc_lo
	v_add_co_u32 v113, vcc_lo, s57, v17
	v_cmp_eq_u32_e64 s0, 0, v15
	v_cmp_eq_u32_e64 s1, 1, v15
	;; [unrolled: 1-line block ×8, first 2 shown]
	v_lshl_add_u32 v75, v30, 1, 0x100
	v_lshlrev_b32_e32 v76, 4, v15
	v_add_co_ci_u32_e32 v114, vcc_lo, s58, v20, vcc_lo
	s_mul_i32 s11, s16, s26
	s_mul_i32 s17, s16, s38
                                        ; implicit-def: $vgpr118
                                        ; implicit-def: $vgpr117
.LBB9_10:                               ; =>This Inner Loop Header: Depth=1
	s_delay_alu instid0(VALU_DEP_2)
	v_add_co_u32 v8, vcc_lo, v111, v76
	v_add_co_ci_u32_e32 v9, vcc_lo, 0, v112, vcc_lo
	s_and_b32 vcc_lo, exec_lo, s36
	global_load_b128 v[12:15], v[8:9], off
	s_waitcnt vmcnt(0)
	v_lshlrev_b32_e32 v10, 16, v13
	v_lshlrev_b32_e32 v9, 16, v12
	v_and_b32_e32 v8, 0xffff0000, v12
	v_lshlrev_b32_e32 v12, 16, v14
	v_and_b32_e32 v11, 0xffff0000, v13
	v_and_b32_e32 v13, 0xffff0000, v14
	v_fma_f32 v16, v56, v9, 0
	v_lshlrev_b32_e32 v14, 16, v15
	s_delay_alu instid0(VALU_DEP_2) | instskip(NEXT) | instid1(VALU_DEP_1)
	v_dual_fmac_f32 v16, v57, v8 :: v_dual_and_b32 v15, 0xffff0000, v15
	v_fmac_f32_e32 v16, v58, v10
	s_delay_alu instid0(VALU_DEP_1) | instskip(NEXT) | instid1(VALU_DEP_1)
	v_fmac_f32_e32 v16, v59, v11
	v_fmac_f32_e32 v16, v60, v12
	s_delay_alu instid0(VALU_DEP_1) | instskip(NEXT) | instid1(VALU_DEP_1)
	v_fmac_f32_e32 v16, v61, v13
	v_fmac_f32_e32 v16, v62, v14
	s_delay_alu instid0(VALU_DEP_1)
	v_fmac_f32_e32 v16, v63, v15
	ds_bpermute_b32 v17, v53, v16
	s_waitcnt lgkmcnt(0)
	v_add_f32_e32 v16, v16, v17
	ds_bpermute_b32 v17, v54, v16
	s_waitcnt lgkmcnt(0)
	v_add_f32_e32 v16, v16, v17
	;; [unrolled: 3-line block ×3, first 2 shown]
	s_cbranch_vccz .LBB9_12
; %bb.11:                               ;   in Loop: Header=BB9_10 Depth=1
	v_add_co_u32 v16, vcc_lo, v81, s13
	v_add_co_ci_u32_e32 v17, vcc_lo, s27, v82, vcc_lo
	global_load_u16 v16, v[16:17], off
	s_waitcnt vmcnt(0)
	v_fma_mix_f32 v123, v52, v16, v123 op_sel_hi:[0,1,0]
.LBB9_12:                               ;   in Loop: Header=BB9_10 Depth=1
	v_fma_f32 v9, v9, v64, 0
	s_and_not1_b32 vcc_lo, exec_lo, s37
	s_delay_alu instid0(VALU_DEP_1) | instskip(NEXT) | instid1(VALU_DEP_1)
	v_fmac_f32_e32 v9, v8, v65
	v_fmac_f32_e32 v9, v10, v66
	s_delay_alu instid0(VALU_DEP_1) | instskip(NEXT) | instid1(VALU_DEP_1)
	v_fmac_f32_e32 v9, v11, v67
	v_fmac_f32_e32 v9, v12, v68
	;; [unrolled: 3-line block ×3, first 2 shown]
	s_delay_alu instid0(VALU_DEP_1)
	v_fmac_f32_e32 v9, v15, v71
	ds_bpermute_b32 v8, v53, v9
	s_waitcnt lgkmcnt(0)
	v_add_f32_e32 v8, v9, v8
	ds_bpermute_b32 v9, v54, v8
	s_waitcnt lgkmcnt(0)
	v_add_f32_e32 v8, v8, v9
	;; [unrolled: 3-line block ×3, first 2 shown]
	s_cbranch_vccnz .LBB9_14
; %bb.13:                               ;   in Loop: Header=BB9_10 Depth=1
	v_add_co_u32 v8, vcc_lo, v79, s13
	v_add_co_ci_u32_e32 v9, vcc_lo, s27, v80, vcc_lo
	global_load_u16 v8, v[8:9], off
	s_waitcnt vmcnt(0)
	v_fma_mix_f32 v124, v52, v8, v124 op_sel_hi:[0,1,0]
.LBB9_14:                               ;   in Loop: Header=BB9_10 Depth=1
	v_add_co_u32 v8, vcc_lo, v113, v76
	v_add_co_ci_u32_e32 v9, vcc_lo, 0, v114, vcc_lo
	s_and_not1_b32 vcc_lo, exec_lo, s36
	global_load_b128 v[12:15], v[8:9], off
	s_waitcnt vmcnt(0)
	v_lshlrev_b32_e32 v10, 16, v13
	v_lshlrev_b32_e32 v9, 16, v12
	v_and_b32_e32 v8, 0xffff0000, v12
	v_lshlrev_b32_e32 v12, 16, v14
	v_and_b32_e32 v11, 0xffff0000, v13
	v_and_b32_e32 v13, 0xffff0000, v14
	v_fma_f32 v16, v56, v9, 0
	v_lshlrev_b32_e32 v14, 16, v15
	s_delay_alu instid0(VALU_DEP_2) | instskip(NEXT) | instid1(VALU_DEP_1)
	v_dual_fmac_f32 v16, v57, v8 :: v_dual_and_b32 v15, 0xffff0000, v15
	v_fmac_f32_e32 v16, v58, v10
	s_delay_alu instid0(VALU_DEP_1) | instskip(NEXT) | instid1(VALU_DEP_1)
	v_fmac_f32_e32 v16, v59, v11
	v_fmac_f32_e32 v16, v60, v12
	s_delay_alu instid0(VALU_DEP_1) | instskip(NEXT) | instid1(VALU_DEP_1)
	v_fmac_f32_e32 v16, v61, v13
	v_fmac_f32_e32 v16, v62, v14
	s_delay_alu instid0(VALU_DEP_1)
	v_fmac_f32_e32 v16, v63, v15
	ds_bpermute_b32 v17, v53, v16
	s_waitcnt lgkmcnt(0)
	v_add_f32_e32 v16, v16, v17
	ds_bpermute_b32 v17, v54, v16
	s_waitcnt lgkmcnt(0)
	v_add_f32_e32 v16, v16, v17
	;; [unrolled: 3-line block ×3, first 2 shown]
	s_cbranch_vccnz .LBB9_16
; %bb.15:                               ;   in Loop: Header=BB9_10 Depth=1
	v_add_co_u32 v16, vcc_lo, v81, s13
	v_add_co_ci_u32_e32 v17, vcc_lo, s27, v82, vcc_lo
	global_load_u16 v16, v[16:17], off offset:2
	s_waitcnt vmcnt(0)
	v_fma_mix_f32 v42, v52, v16, v42 op_sel_hi:[0,1,0]
.LBB9_16:                               ;   in Loop: Header=BB9_10 Depth=1
	v_fma_f32 v9, v9, v64, 0
	s_and_not1_b32 vcc_lo, exec_lo, s37
	s_delay_alu instid0(VALU_DEP_1) | instskip(NEXT) | instid1(VALU_DEP_1)
	v_fmac_f32_e32 v9, v8, v65
	v_fmac_f32_e32 v9, v10, v66
	s_delay_alu instid0(VALU_DEP_1) | instskip(NEXT) | instid1(VALU_DEP_1)
	v_fmac_f32_e32 v9, v11, v67
	v_fmac_f32_e32 v9, v12, v68
	;; [unrolled: 3-line block ×3, first 2 shown]
	s_delay_alu instid0(VALU_DEP_1)
	v_fmac_f32_e32 v9, v15, v71
	ds_bpermute_b32 v8, v53, v9
	s_waitcnt lgkmcnt(0)
	v_add_f32_e32 v8, v9, v8
	ds_bpermute_b32 v9, v54, v8
	s_waitcnt lgkmcnt(0)
	v_add_f32_e32 v8, v8, v9
	;; [unrolled: 3-line block ×3, first 2 shown]
	s_cbranch_vccnz .LBB9_18
; %bb.17:                               ;   in Loop: Header=BB9_10 Depth=1
	v_add_co_u32 v8, vcc_lo, v83, s13
	v_add_co_ci_u32_e32 v9, vcc_lo, s27, v84, vcc_lo
	global_load_u16 v8, v[8:9], off offset:2
	s_waitcnt vmcnt(0)
	v_fma_mix_f32 v43, v52, v8, v43 op_sel_hi:[0,1,0]
.LBB9_18:                               ;   in Loop: Header=BB9_10 Depth=1
	v_add_co_u32 v8, vcc_lo, v107, v76
	v_add_co_ci_u32_e32 v9, vcc_lo, 0, v108, vcc_lo
	s_and_not1_b32 vcc_lo, exec_lo, s36
	global_load_b128 v[12:15], v[8:9], off
	s_waitcnt vmcnt(0)
	v_lshlrev_b32_e32 v10, 16, v13
	v_lshlrev_b32_e32 v9, 16, v12
	v_and_b32_e32 v8, 0xffff0000, v12
	v_lshlrev_b32_e32 v12, 16, v14
	v_and_b32_e32 v11, 0xffff0000, v13
	v_and_b32_e32 v13, 0xffff0000, v14
	v_fma_f32 v16, v56, v9, 0
	v_lshlrev_b32_e32 v14, 16, v15
	s_delay_alu instid0(VALU_DEP_2) | instskip(NEXT) | instid1(VALU_DEP_1)
	v_dual_fmac_f32 v16, v57, v8 :: v_dual_and_b32 v15, 0xffff0000, v15
	v_fmac_f32_e32 v16, v58, v10
	s_delay_alu instid0(VALU_DEP_1) | instskip(NEXT) | instid1(VALU_DEP_1)
	v_fmac_f32_e32 v16, v59, v11
	v_fmac_f32_e32 v16, v60, v12
	s_delay_alu instid0(VALU_DEP_1) | instskip(NEXT) | instid1(VALU_DEP_1)
	v_fmac_f32_e32 v16, v61, v13
	v_fmac_f32_e32 v16, v62, v14
	s_delay_alu instid0(VALU_DEP_1)
	v_fmac_f32_e32 v16, v63, v15
	ds_bpermute_b32 v17, v53, v16
	s_waitcnt lgkmcnt(0)
	v_add_f32_e32 v16, v16, v17
	ds_bpermute_b32 v17, v54, v16
	s_waitcnt lgkmcnt(0)
	v_add_f32_e32 v16, v16, v17
	;; [unrolled: 3-line block ×3, first 2 shown]
	s_cbranch_vccnz .LBB9_20
; %bb.19:                               ;   in Loop: Header=BB9_10 Depth=1
	v_add_co_u32 v16, vcc_lo, v81, s13
	v_add_co_ci_u32_e32 v17, vcc_lo, s27, v82, vcc_lo
	global_load_u16 v16, v[16:17], off offset:4
	s_waitcnt vmcnt(0)
	v_fma_mix_f32 v119, v52, v16, v119 op_sel_hi:[0,1,0]
.LBB9_20:                               ;   in Loop: Header=BB9_10 Depth=1
	v_fma_f32 v9, v9, v64, 0
	s_and_not1_b32 vcc_lo, exec_lo, s37
	s_delay_alu instid0(VALU_DEP_1) | instskip(NEXT) | instid1(VALU_DEP_1)
	v_fmac_f32_e32 v9, v8, v65
	v_fmac_f32_e32 v9, v10, v66
	s_delay_alu instid0(VALU_DEP_1) | instskip(NEXT) | instid1(VALU_DEP_1)
	v_fmac_f32_e32 v9, v11, v67
	v_fmac_f32_e32 v9, v12, v68
	;; [unrolled: 3-line block ×3, first 2 shown]
	s_delay_alu instid0(VALU_DEP_1)
	v_fmac_f32_e32 v9, v15, v71
	ds_bpermute_b32 v8, v53, v9
	s_waitcnt lgkmcnt(0)
	v_add_f32_e32 v8, v9, v8
	ds_bpermute_b32 v9, v54, v8
	s_waitcnt lgkmcnt(0)
	v_add_f32_e32 v8, v8, v9
	;; [unrolled: 3-line block ×3, first 2 shown]
	s_cbranch_vccnz .LBB9_22
; %bb.21:                               ;   in Loop: Header=BB9_10 Depth=1
	v_add_co_u32 v8, vcc_lo, v83, s13
	v_add_co_ci_u32_e32 v9, vcc_lo, s27, v84, vcc_lo
	global_load_u16 v8, v[8:9], off offset:4
	s_waitcnt vmcnt(0)
	v_fma_mix_f32 v120, v52, v8, v120 op_sel_hi:[0,1,0]
.LBB9_22:                               ;   in Loop: Header=BB9_10 Depth=1
	v_add_co_u32 v8, vcc_lo, v101, v76
	v_add_co_ci_u32_e32 v9, vcc_lo, 0, v102, vcc_lo
	s_and_not1_b32 vcc_lo, exec_lo, s36
	global_load_b128 v[12:15], v[8:9], off
	s_waitcnt vmcnt(0)
	v_lshlrev_b32_e32 v10, 16, v13
	v_lshlrev_b32_e32 v9, 16, v12
	v_and_b32_e32 v8, 0xffff0000, v12
	v_lshlrev_b32_e32 v12, 16, v14
	v_and_b32_e32 v11, 0xffff0000, v13
	v_and_b32_e32 v13, 0xffff0000, v14
	v_fma_f32 v16, v56, v9, 0
	v_lshlrev_b32_e32 v14, 16, v15
	s_delay_alu instid0(VALU_DEP_2) | instskip(NEXT) | instid1(VALU_DEP_1)
	v_dual_fmac_f32 v16, v57, v8 :: v_dual_and_b32 v15, 0xffff0000, v15
	v_fmac_f32_e32 v16, v58, v10
	s_delay_alu instid0(VALU_DEP_1) | instskip(NEXT) | instid1(VALU_DEP_1)
	v_fmac_f32_e32 v16, v59, v11
	v_fmac_f32_e32 v16, v60, v12
	s_delay_alu instid0(VALU_DEP_1) | instskip(NEXT) | instid1(VALU_DEP_1)
	v_fmac_f32_e32 v16, v61, v13
	v_fmac_f32_e32 v16, v62, v14
	s_delay_alu instid0(VALU_DEP_1)
	v_fmac_f32_e32 v16, v63, v15
	ds_bpermute_b32 v17, v53, v16
	s_waitcnt lgkmcnt(0)
	v_add_f32_e32 v16, v16, v17
	ds_bpermute_b32 v17, v54, v16
	s_waitcnt lgkmcnt(0)
	v_add_f32_e32 v16, v16, v17
	;; [unrolled: 3-line block ×3, first 2 shown]
	s_cbranch_vccnz .LBB9_24
; %bb.23:                               ;   in Loop: Header=BB9_10 Depth=1
	v_add_co_u32 v16, vcc_lo, v81, s13
	v_add_co_ci_u32_e32 v17, vcc_lo, s27, v82, vcc_lo
	global_load_u16 v16, v[16:17], off offset:6
	s_waitcnt vmcnt(0)
	v_fma_mix_f32 v121, v52, v16, v121 op_sel_hi:[0,1,0]
.LBB9_24:                               ;   in Loop: Header=BB9_10 Depth=1
	v_fma_f32 v9, v9, v64, 0
	s_and_not1_b32 vcc_lo, exec_lo, s37
	s_delay_alu instid0(VALU_DEP_1) | instskip(NEXT) | instid1(VALU_DEP_1)
	v_fmac_f32_e32 v9, v8, v65
	v_fmac_f32_e32 v9, v10, v66
	s_delay_alu instid0(VALU_DEP_1) | instskip(NEXT) | instid1(VALU_DEP_1)
	v_fmac_f32_e32 v9, v11, v67
	v_fmac_f32_e32 v9, v12, v68
	;; [unrolled: 3-line block ×3, first 2 shown]
	s_delay_alu instid0(VALU_DEP_1)
	v_fmac_f32_e32 v9, v15, v71
	ds_bpermute_b32 v8, v53, v9
	s_waitcnt lgkmcnt(0)
	v_add_f32_e32 v8, v9, v8
	ds_bpermute_b32 v9, v54, v8
	s_waitcnt lgkmcnt(0)
	v_add_f32_e32 v8, v8, v9
	;; [unrolled: 3-line block ×3, first 2 shown]
	s_cbranch_vccnz .LBB9_26
; %bb.25:                               ;   in Loop: Header=BB9_10 Depth=1
	v_add_co_u32 v8, vcc_lo, v83, s13
	v_add_co_ci_u32_e32 v9, vcc_lo, s27, v84, vcc_lo
	global_load_u16 v8, v[8:9], off offset:6
	s_waitcnt vmcnt(0)
	v_fma_mix_f32 v122, v52, v8, v122 op_sel_hi:[0,1,0]
.LBB9_26:                               ;   in Loop: Header=BB9_10 Depth=1
	v_add_co_u32 v8, vcc_lo, v93, v76
	v_add_co_ci_u32_e32 v9, vcc_lo, 0, v94, vcc_lo
	s_and_not1_b32 vcc_lo, exec_lo, s36
	global_load_b128 v[12:15], v[8:9], off
	s_waitcnt vmcnt(0)
	v_lshlrev_b32_e32 v10, 16, v13
	v_lshlrev_b32_e32 v9, 16, v12
	v_and_b32_e32 v8, 0xffff0000, v12
	v_lshlrev_b32_e32 v12, 16, v14
	v_and_b32_e32 v11, 0xffff0000, v13
	v_and_b32_e32 v13, 0xffff0000, v14
	v_fma_f32 v16, v56, v9, 0
	v_lshlrev_b32_e32 v14, 16, v15
	s_delay_alu instid0(VALU_DEP_2) | instskip(NEXT) | instid1(VALU_DEP_1)
	v_dual_fmac_f32 v16, v57, v8 :: v_dual_and_b32 v15, 0xffff0000, v15
	v_fmac_f32_e32 v16, v58, v10
	s_delay_alu instid0(VALU_DEP_1) | instskip(NEXT) | instid1(VALU_DEP_1)
	v_fmac_f32_e32 v16, v59, v11
	v_fmac_f32_e32 v16, v60, v12
	s_delay_alu instid0(VALU_DEP_1) | instskip(NEXT) | instid1(VALU_DEP_1)
	v_fmac_f32_e32 v16, v61, v13
	v_fmac_f32_e32 v16, v62, v14
	s_delay_alu instid0(VALU_DEP_1)
	v_fmac_f32_e32 v16, v63, v15
	ds_bpermute_b32 v17, v53, v16
	s_waitcnt lgkmcnt(0)
	v_add_f32_e32 v16, v16, v17
	ds_bpermute_b32 v17, v54, v16
	s_waitcnt lgkmcnt(0)
	v_add_f32_e32 v16, v16, v17
	;; [unrolled: 3-line block ×3, first 2 shown]
	s_cbranch_vccnz .LBB9_28
; %bb.27:                               ;   in Loop: Header=BB9_10 Depth=1
	v_add_co_u32 v16, vcc_lo, v81, s13
	v_add_co_ci_u32_e32 v17, vcc_lo, s27, v82, vcc_lo
	global_load_u16 v16, v[16:17], off offset:8
	s_waitcnt vmcnt(0)
	v_fma_mix_f32 v125, v52, v16, v125 op_sel_hi:[0,1,0]
.LBB9_28:                               ;   in Loop: Header=BB9_10 Depth=1
	v_fma_f32 v9, v9, v64, 0
	s_and_not1_b32 vcc_lo, exec_lo, s37
	s_delay_alu instid0(VALU_DEP_1) | instskip(NEXT) | instid1(VALU_DEP_1)
	v_fmac_f32_e32 v9, v8, v65
	v_fmac_f32_e32 v9, v10, v66
	s_delay_alu instid0(VALU_DEP_1) | instskip(NEXT) | instid1(VALU_DEP_1)
	v_fmac_f32_e32 v9, v11, v67
	v_fmac_f32_e32 v9, v12, v68
	;; [unrolled: 3-line block ×3, first 2 shown]
	s_delay_alu instid0(VALU_DEP_1)
	v_fmac_f32_e32 v9, v15, v71
	ds_bpermute_b32 v8, v53, v9
	s_waitcnt lgkmcnt(0)
	v_add_f32_e32 v8, v9, v8
	ds_bpermute_b32 v9, v54, v8
	s_waitcnt lgkmcnt(0)
	v_add_f32_e32 v8, v8, v9
	;; [unrolled: 3-line block ×3, first 2 shown]
	s_cbranch_vccnz .LBB9_30
; %bb.29:                               ;   in Loop: Header=BB9_10 Depth=1
	v_add_co_u32 v8, vcc_lo, v83, s13
	v_add_co_ci_u32_e32 v9, vcc_lo, s27, v84, vcc_lo
	global_load_u16 v8, v[8:9], off offset:8
	s_waitcnt vmcnt(0)
	v_fma_mix_f32 v126, v52, v8, v126 op_sel_hi:[0,1,0]
.LBB9_30:                               ;   in Loop: Header=BB9_10 Depth=1
	v_add_co_u32 v8, vcc_lo, v87, v76
	v_add_co_ci_u32_e32 v9, vcc_lo, 0, v88, vcc_lo
	s_and_not1_b32 vcc_lo, exec_lo, s36
	global_load_b128 v[12:15], v[8:9], off
	s_waitcnt vmcnt(0)
	v_lshlrev_b32_e32 v10, 16, v13
	v_lshlrev_b32_e32 v9, 16, v12
	v_and_b32_e32 v8, 0xffff0000, v12
	v_lshlrev_b32_e32 v12, 16, v14
	v_and_b32_e32 v11, 0xffff0000, v13
	v_and_b32_e32 v13, 0xffff0000, v14
	v_fma_f32 v16, v56, v9, 0
	v_lshlrev_b32_e32 v14, 16, v15
	s_delay_alu instid0(VALU_DEP_2) | instskip(NEXT) | instid1(VALU_DEP_1)
	v_dual_fmac_f32 v16, v57, v8 :: v_dual_and_b32 v15, 0xffff0000, v15
	v_fmac_f32_e32 v16, v58, v10
	s_delay_alu instid0(VALU_DEP_1) | instskip(NEXT) | instid1(VALU_DEP_1)
	v_fmac_f32_e32 v16, v59, v11
	v_fmac_f32_e32 v16, v60, v12
	s_delay_alu instid0(VALU_DEP_1) | instskip(NEXT) | instid1(VALU_DEP_1)
	v_fmac_f32_e32 v16, v61, v13
	v_fmac_f32_e32 v16, v62, v14
	s_delay_alu instid0(VALU_DEP_1)
	v_fmac_f32_e32 v16, v63, v15
	ds_bpermute_b32 v17, v53, v16
	s_waitcnt lgkmcnt(0)
	v_add_f32_e32 v16, v16, v17
	ds_bpermute_b32 v17, v54, v16
	s_waitcnt lgkmcnt(0)
	v_add_f32_e32 v16, v16, v17
	;; [unrolled: 3-line block ×3, first 2 shown]
	s_cbranch_vccnz .LBB9_32
; %bb.31:                               ;   in Loop: Header=BB9_10 Depth=1
	v_add_co_u32 v16, vcc_lo, v81, s13
	v_add_co_ci_u32_e32 v17, vcc_lo, s27, v82, vcc_lo
	global_load_u16 v16, v[16:17], off offset:10
	s_waitcnt vmcnt(0)
	v_fma_mix_f32 v127, v52, v16, v127 op_sel_hi:[0,1,0]
.LBB9_32:                               ;   in Loop: Header=BB9_10 Depth=1
	v_fma_f32 v9, v9, v64, 0
	s_and_not1_b32 vcc_lo, exec_lo, s37
	s_delay_alu instid0(VALU_DEP_1) | instskip(NEXT) | instid1(VALU_DEP_1)
	v_fmac_f32_e32 v9, v8, v65
	v_fmac_f32_e32 v9, v10, v66
	s_delay_alu instid0(VALU_DEP_1) | instskip(NEXT) | instid1(VALU_DEP_1)
	v_fmac_f32_e32 v9, v11, v67
	v_fmac_f32_e32 v9, v12, v68
	s_delay_alu instid0(VALU_DEP_1) | instskip(NEXT) | instid1(VALU_DEP_1)
	v_fmac_f32_e32 v9, v13, v69
	v_fmac_f32_e32 v9, v14, v70
	s_delay_alu instid0(VALU_DEP_1)
	v_fmac_f32_e32 v9, v15, v71
	ds_bpermute_b32 v8, v53, v9
	s_waitcnt lgkmcnt(0)
	v_add_f32_e32 v8, v9, v8
	ds_bpermute_b32 v9, v54, v8
	s_waitcnt lgkmcnt(0)
	v_add_f32_e32 v8, v8, v9
	;; [unrolled: 3-line block ×3, first 2 shown]
	s_cbranch_vccnz .LBB9_34
; %bb.33:                               ;   in Loop: Header=BB9_10 Depth=1
	v_add_co_u32 v8, vcc_lo, v83, s13
	v_add_co_ci_u32_e32 v9, vcc_lo, s27, v84, vcc_lo
	global_load_u16 v8, v[8:9], off offset:10
	s_waitcnt vmcnt(0)
	v_fma_mix_f32 v128, v52, v8, v128 op_sel_hi:[0,1,0]
.LBB9_34:                               ;   in Loop: Header=BB9_10 Depth=1
	v_add_co_u32 v8, vcc_lo, v85, v76
	v_add_co_ci_u32_e32 v9, vcc_lo, 0, v86, vcc_lo
	s_and_not1_b32 vcc_lo, exec_lo, s36
	global_load_b128 v[12:15], v[8:9], off
	s_waitcnt vmcnt(0)
	v_lshlrev_b32_e32 v10, 16, v13
	v_lshlrev_b32_e32 v9, 16, v12
	v_and_b32_e32 v8, 0xffff0000, v12
	v_lshlrev_b32_e32 v12, 16, v14
	v_and_b32_e32 v11, 0xffff0000, v13
	v_and_b32_e32 v13, 0xffff0000, v14
	v_fma_f32 v16, v56, v9, 0
	v_lshlrev_b32_e32 v14, 16, v15
	s_delay_alu instid0(VALU_DEP_2) | instskip(NEXT) | instid1(VALU_DEP_1)
	v_dual_fmac_f32 v16, v57, v8 :: v_dual_and_b32 v15, 0xffff0000, v15
	v_fmac_f32_e32 v16, v58, v10
	s_delay_alu instid0(VALU_DEP_1) | instskip(NEXT) | instid1(VALU_DEP_1)
	v_fmac_f32_e32 v16, v59, v11
	v_fmac_f32_e32 v16, v60, v12
	s_delay_alu instid0(VALU_DEP_1) | instskip(NEXT) | instid1(VALU_DEP_1)
	v_fmac_f32_e32 v16, v61, v13
	v_fmac_f32_e32 v16, v62, v14
	s_delay_alu instid0(VALU_DEP_1)
	v_fmac_f32_e32 v16, v63, v15
	ds_bpermute_b32 v17, v53, v16
	s_waitcnt lgkmcnt(0)
	v_add_f32_e32 v16, v16, v17
	ds_bpermute_b32 v17, v54, v16
	s_waitcnt lgkmcnt(0)
	v_add_f32_e32 v16, v16, v17
	;; [unrolled: 3-line block ×3, first 2 shown]
	s_cbranch_vccnz .LBB9_36
; %bb.35:                               ;   in Loop: Header=BB9_10 Depth=1
	v_add_co_u32 v16, vcc_lo, v81, s13
	v_add_co_ci_u32_e32 v17, vcc_lo, s27, v82, vcc_lo
	global_load_u16 v16, v[16:17], off offset:12
	s_waitcnt vmcnt(0)
	v_fma_mix_f32 v129, v52, v16, v129 op_sel_hi:[0,1,0]
.LBB9_36:                               ;   in Loop: Header=BB9_10 Depth=1
	v_fma_f32 v9, v9, v64, 0
	s_and_not1_b32 vcc_lo, exec_lo, s37
	s_delay_alu instid0(VALU_DEP_1) | instskip(NEXT) | instid1(VALU_DEP_1)
	v_fmac_f32_e32 v9, v8, v65
	v_fmac_f32_e32 v9, v10, v66
	s_delay_alu instid0(VALU_DEP_1) | instskip(NEXT) | instid1(VALU_DEP_1)
	v_fmac_f32_e32 v9, v11, v67
	v_fmac_f32_e32 v9, v12, v68
	;; [unrolled: 3-line block ×3, first 2 shown]
	s_delay_alu instid0(VALU_DEP_1)
	v_fmac_f32_e32 v9, v15, v71
	ds_bpermute_b32 v8, v53, v9
	s_waitcnt lgkmcnt(0)
	v_add_f32_e32 v8, v9, v8
	ds_bpermute_b32 v9, v54, v8
	s_waitcnt lgkmcnt(0)
	v_add_f32_e32 v8, v8, v9
	;; [unrolled: 3-line block ×3, first 2 shown]
	s_cbranch_vccnz .LBB9_38
; %bb.37:                               ;   in Loop: Header=BB9_10 Depth=1
	v_add_co_u32 v8, vcc_lo, v83, s13
	v_add_co_ci_u32_e32 v9, vcc_lo, s27, v84, vcc_lo
	global_load_u16 v8, v[8:9], off offset:12
	s_waitcnt vmcnt(0)
	v_fma_mix_f32 v130, v52, v8, v130 op_sel_hi:[0,1,0]
.LBB9_38:                               ;   in Loop: Header=BB9_10 Depth=1
	v_add_co_u32 v8, vcc_lo, v77, v76
	v_add_co_ci_u32_e32 v9, vcc_lo, 0, v78, vcc_lo
	s_and_not1_b32 vcc_lo, exec_lo, s36
	global_load_b128 v[13:16], v[8:9], off
	s_waitcnt vmcnt(0)
	v_lshlrev_b32_e32 v9, 16, v13
	v_lshlrev_b32_e32 v11, 16, v14
	v_and_b32_e32 v8, 0xffff0000, v13
	v_lshlrev_b32_e32 v13, 16, v15
	v_and_b32_e32 v10, 0xffff0000, v14
	v_fma_f32 v17, v9, v56, 0
	s_delay_alu instid0(VALU_DEP_1) | instskip(NEXT) | instid1(VALU_DEP_1)
	v_dual_fmac_f32 v17, v8, v57 :: v_dual_and_b32 v14, 0xffff0000, v16
	v_fmac_f32_e32 v17, v11, v58
	s_delay_alu instid0(VALU_DEP_1) | instskip(SKIP_2) | instid1(VALU_DEP_3)
	v_fmac_f32_e32 v17, v10, v59
	v_and_b32_e32 v12, 0xffff0000, v15
	v_lshlrev_b32_e32 v15, 16, v16
	v_fmac_f32_e32 v17, v13, v60
	s_delay_alu instid0(VALU_DEP_1) | instskip(NEXT) | instid1(VALU_DEP_1)
	v_fmac_f32_e32 v17, v12, v61
	v_fmac_f32_e32 v17, v15, v62
	s_delay_alu instid0(VALU_DEP_1)
	v_fmac_f32_e32 v17, v14, v63
	ds_bpermute_b32 v16, v53, v17
	s_waitcnt lgkmcnt(0)
	v_add_f32_e32 v16, v17, v16
	ds_bpermute_b32 v17, v54, v16
	s_waitcnt lgkmcnt(0)
	v_add_f32_e32 v16, v16, v17
	;; [unrolled: 3-line block ×3, first 2 shown]
	s_cbranch_vccnz .LBB9_40
; %bb.39:                               ;   in Loop: Header=BB9_10 Depth=1
	v_add_co_u32 v16, vcc_lo, v81, s13
	v_add_co_ci_u32_e32 v17, vcc_lo, s27, v82, vcc_lo
	global_load_u16 v16, v[16:17], off offset:14
	s_waitcnt vmcnt(0)
	v_fma_mix_f32 v131, v52, v16, v131 op_sel_hi:[0,1,0]
.LBB9_40:                               ;   in Loop: Header=BB9_10 Depth=1
	v_fma_f32 v9, v9, v64, 0
	s_and_not1_b32 vcc_lo, exec_lo, s37
	s_delay_alu instid0(VALU_DEP_1) | instskip(NEXT) | instid1(VALU_DEP_1)
	v_fmac_f32_e32 v9, v8, v65
	v_fmac_f32_e32 v9, v11, v66
	s_delay_alu instid0(VALU_DEP_1) | instskip(NEXT) | instid1(VALU_DEP_1)
	v_fmac_f32_e32 v9, v10, v67
	v_fmac_f32_e32 v9, v13, v68
	s_delay_alu instid0(VALU_DEP_1) | instskip(NEXT) | instid1(VALU_DEP_1)
	v_fmac_f32_e32 v9, v12, v69
	v_fmac_f32_e32 v9, v15, v70
	s_delay_alu instid0(VALU_DEP_1)
	v_fmac_f32_e32 v9, v14, v71
	ds_bpermute_b32 v8, v53, v9
	s_waitcnt lgkmcnt(0)
	v_add_f32_e32 v8, v9, v8
	ds_bpermute_b32 v9, v54, v8
	s_waitcnt lgkmcnt(0)
	v_add_f32_e32 v8, v8, v9
	;; [unrolled: 3-line block ×3, first 2 shown]
	s_cbranch_vccnz .LBB9_42
; %bb.41:                               ;   in Loop: Header=BB9_10 Depth=1
	v_add_co_u32 v8, vcc_lo, v83, s13
	v_add_co_ci_u32_e32 v9, vcc_lo, s27, v84, vcc_lo
	global_load_u16 v8, v[8:9], off offset:14
	s_waitcnt vmcnt(0)
	v_fma_mix_f32 v132, v52, v8, v132 op_sel_hi:[0,1,0]
.LBB9_42:                               ;   in Loop: Header=BB9_10 Depth=1
	v_add_co_u32 v8, vcc_lo, v89, v76
	v_add_co_ci_u32_e32 v9, vcc_lo, 0, v90, vcc_lo
	v_add_co_u32 v12, vcc_lo, v91, v76
	v_add_co_ci_u32_e32 v13, vcc_lo, 0, v92, vcc_lo
	global_load_b128 v[8:11], v[8:9], off
	v_dual_add_f32 v133, 0x40051340, v123 :: v_dual_add_f32 v134, 0x40051340, v42
	global_load_b128 v[16:19], v[12:13], off
	v_add_co_u32 v12, vcc_lo, v95, v76
	v_add_co_ci_u32_e32 v13, vcc_lo, 0, v96, vcc_lo
	v_add_co_u32 v20, vcc_lo, v97, v76
	v_add_co_ci_u32_e32 v21, vcc_lo, 0, v98, vcc_lo
	global_load_b128 v[12:15], v[12:13], off
	v_add_co_u32 v22, vcc_lo, v99, v76
	v_add_co_ci_u32_e32 v23, vcc_lo, 0, v100, vcc_lo
	global_load_b128 v[24:27], v[20:21], off
	global_load_b128 v[20:23], v[22:23], off
	v_add_co_u32 v28, vcc_lo, v103, v76
	v_add_co_ci_u32_e32 v29, vcc_lo, 0, v104, vcc_lo
	v_dual_add_f32 v135, 0x40051340, v119 :: v_dual_add_f32 v136, 0x40051340, v121
	v_dual_add_f32 v137, 0x40051340, v124 :: v_dual_add_f32 v138, 0x40051340, v43
	global_load_b128 v[32:35], v[28:29], off
	v_add_co_u32 v28, vcc_lo, v105, v76
	v_add_co_ci_u32_e32 v29, vcc_lo, 0, v106, vcc_lo
	v_add_co_u32 v36, vcc_lo, v109, v76
	v_add_co_ci_u32_e32 v37, vcc_lo, 0, v110, vcc_lo
	global_load_b128 v[28:31], v[28:29], off
	v_max3_f32 v133, v115, v133, v134
	v_cndmask_b32_e64 v118, v118, v123, s0
	global_load_b128 v[36:39], v[36:37], off
	v_dual_add_f32 v123, 0x40051340, v120 :: v_dual_add_f32 v140, 0x40051340, v125
	v_dual_add_f32 v139, 0x40051340, v122 :: v_dual_add_f32 v144, 0x40051340, v129
	;; [unrolled: 1-line block ×3, first 2 shown]
	v_max3_f32 v134, v116, v137, v138
	v_max3_f32 v133, v133, v135, v136
	v_add_f32_e32 v143, 0x40051340, v128
	v_dual_add_f32 v145, 0x40051340, v131 :: v_dual_add_f32 v146, 0x40051340, v132
	s_delay_alu instid0(VALU_DEP_4) | instskip(NEXT) | instid1(VALU_DEP_4)
	v_max3_f32 v123, v134, v123, v139
	v_max3_f32 v133, v133, v140, v141
	v_cndmask_b32_e64 v117, v117, v124, s0
	v_add_f32_e32 v124, 0x40051340, v130
	v_cndmask_b32_e64 v42, v118, v42, s1
	v_max3_f32 v123, v123, v142, v143
	v_max3_f32 v133, v133, v144, v145
	v_cndmask_b32_e64 v43, v117, v43, s1
	v_add_co_u32 v77, vcc_lo, v77, s11
	s_delay_alu instid0(VALU_DEP_4)
	v_max3_f32 v123, v123, v124, v146
	ds_bpermute_b32 v134, v72, v133
	v_cndmask_b32_e64 v42, v42, v119, s4
	v_cndmask_b32_e64 v43, v43, v120, s4
	v_add_co_ci_u32_e32 v78, vcc_lo, 0, v78, vcc_lo
	ds_bpermute_b32 v124, v72, v123
	v_cndmask_b32_e64 v42, v42, v121, s5
	v_cndmask_b32_e64 v43, v43, v122, s5
	v_add_co_u32 v79, vcc_lo, v79, s18
	v_add_co_ci_u32_e32 v80, vcc_lo, s19, v80, vcc_lo
	s_delay_alu instid0(VALU_DEP_4) | instskip(NEXT) | instid1(VALU_DEP_4)
	v_cndmask_b32_e64 v42, v42, v125, s6
	v_cndmask_b32_e64 v43, v43, v126, s6
	v_add_co_u32 v81, vcc_lo, v81, s18
	v_add_co_ci_u32_e32 v82, vcc_lo, s19, v82, vcc_lo
	s_delay_alu instid0(VALU_DEP_4) | instskip(NEXT) | instid1(VALU_DEP_4)
	v_cndmask_b32_e64 v42, v42, v127, s7
	v_cndmask_b32_e64 v43, v43, v128, s7
	s_waitcnt lgkmcnt(1)
	v_max_f32_e32 v118, v134, v134
	v_add_co_u32 v83, vcc_lo, v83, s18
	v_cndmask_b32_e64 v42, v42, v129, s8
	v_cndmask_b32_e64 v43, v43, v130, s8
	s_waitcnt lgkmcnt(0)
	v_dual_max_f32 v117, v124, v124 :: v_dual_max_f32 v118, v133, v118
	v_add_co_ci_u32_e32 v84, vcc_lo, s19, v84, vcc_lo
	v_cndmask_b32_e64 v121, v42, v131, s9
	s_delay_alu instid0(VALU_DEP_3)
	v_max_f32_e32 v117, v123, v117
	ds_bpermute_b32 v119, v73, v118
	v_add_co_u32 v85, vcc_lo, v85, s11
	v_add_co_ci_u32_e32 v86, vcc_lo, 0, v86, vcc_lo
	ds_bpermute_b32 v120, v73, v117
	v_add_co_u32 v87, vcc_lo, v87, s11
	v_add_co_ci_u32_e32 v88, vcc_lo, 0, v88, vcc_lo
	v_add_co_u32 v89, vcc_lo, v89, s17
	v_add_co_ci_u32_e32 v90, vcc_lo, 0, v90, vcc_lo
	v_add_co_u32 v91, vcc_lo, v91, s17
	v_add_co_ci_u32_e32 v92, vcc_lo, 0, v92, vcc_lo
	v_add_co_u32 v93, vcc_lo, v93, s11
	s_waitcnt lgkmcnt(1)
	v_max_f32_e32 v119, v119, v119
	v_add_co_ci_u32_e32 v94, vcc_lo, 0, v94, vcc_lo
	v_add_co_u32 v95, vcc_lo, v95, s17
	s_waitcnt lgkmcnt(0)
	v_max_f32_e32 v120, v120, v120
	v_max_f32_e32 v42, v118, v119
	v_cndmask_b32_e64 v118, v43, v132, s9
	v_add_co_ci_u32_e32 v96, vcc_lo, 0, v96, vcc_lo
	s_delay_alu instid0(VALU_DEP_4) | instskip(NEXT) | instid1(VALU_DEP_4)
	v_max_f32_e32 v43, v117, v120
	v_sub_f32_e32 v117, v121, v42
	v_add_co_u32 v97, vcc_lo, v97, s17
	v_add_co_ci_u32_e32 v98, vcc_lo, 0, v98, vcc_lo
	s_delay_alu instid0(VALU_DEP_4) | instskip(NEXT) | instid1(VALU_DEP_4)
	v_dual_sub_f32 v116, v116, v43 :: v_dual_sub_f32 v115, v115, v42
	v_dual_sub_f32 v119, v118, v43 :: v_dual_mul_f32 v118, 0x3fb8aa3b, v117
	v_add_co_u32 v99, vcc_lo, v99, s17
	s_delay_alu instid0(VALU_DEP_3) | instskip(SKIP_1) | instid1(VALU_DEP_4)
	v_mul_f32_e32 v122, 0x3fb8aa3b, v116
	v_add_co_ci_u32_e32 v100, vcc_lo, 0, v100, vcc_lo
	v_rndne_f32_e32 v124, v118
	v_mul_f32_e32 v121, 0x3fb8aa3b, v115
	v_fma_f32 v123, 0x3fb8aa3b, v117, -v118
	v_fma_f32 v129, 0x3fb8aa3b, v116, -v122
	v_rndne_f32_e32 v130, v122
	v_sub_f32_e32 v118, v118, v124
	v_rndne_f32_e32 v128, v121
	v_mul_f32_e32 v120, 0x3fb8aa3b, v119
	v_fma_f32 v127, 0x3fb8aa3b, v115, -v121
	v_add_co_u32 v101, vcc_lo, v101, s11
	s_delay_alu instid0(VALU_DEP_4) | instskip(NEXT) | instid1(VALU_DEP_4)
	v_sub_f32_e32 v121, v121, v128
	v_fma_f32 v125, 0x3fb8aa3b, v119, -v120
	v_rndne_f32_e32 v126, v120
	v_fmac_f32_e32 v123, 0x32a5705f, v117
	v_add_co_ci_u32_e32 v102, vcc_lo, 0, v102, vcc_lo
	v_add_co_u32 v103, vcc_lo, v103, s17
	s_delay_alu instid0(VALU_DEP_4)
	v_dual_sub_f32 v120, v120, v126 :: v_dual_fmac_f32 v125, 0x32a5705f, v119
	v_dual_sub_f32 v122, v122, v130 :: v_dual_fmac_f32 v127, 0x32a5705f, v115
	v_dual_fmac_f32 v129, 0x32a5705f, v116 :: v_dual_add_f32 v118, v118, v123
	v_add_co_ci_u32_e32 v104, vcc_lo, 0, v104, vcc_lo
	v_add_co_u32 v105, vcc_lo, v105, s17
	v_add_co_ci_u32_e32 v106, vcc_lo, 0, v106, vcc_lo
	v_dual_add_f32 v120, v120, v125 :: v_dual_add_f32 v121, v121, v127
	v_add_f32_e32 v122, v122, v129
	v_exp_f32_e32 v118, v118
	v_add_co_u32 v107, vcc_lo, v107, s11
	v_add_co_ci_u32_e32 v108, vcc_lo, 0, v108, vcc_lo
	v_add_co_u32 v109, vcc_lo, v109, s17
	v_cvt_i32_f32_e32 v123, v124
	v_exp_f32_e32 v120, v120
	v_exp_f32_e32 v121, v121
	v_add_co_ci_u32_e32 v110, vcc_lo, 0, v110, vcc_lo
	v_add_co_u32 v111, vcc_lo, v111, s11
	v_add_co_ci_u32_e32 v112, vcc_lo, 0, v112, vcc_lo
	v_cvt_i32_f32_e32 v124, v126
	v_cvt_i32_f32_e32 v125, v128
	v_ldexp_f32 v118, v118, v123
	v_cmp_ngt_f32_e32 vcc_lo, 0xc2ce8ed0, v117
	v_exp_f32_e32 v122, v122
	v_ldexp_f32 v120, v120, v124
	v_ldexp_f32 v121, v121, v125
	v_cvt_i32_f32_e32 v123, v130
	v_cndmask_b32_e32 v118, 0, v118, vcc_lo
	v_cmp_ngt_f32_e32 vcc_lo, 0xc2ce8ed0, v119
	s_add_i32 s10, s10, s16
	s_delay_alu instid0(SALU_CYCLE_1)
	s_cmp_ge_i32 s10, s44
	v_cndmask_b32_e32 v120, 0, v120, vcc_lo
	v_cmp_nlt_f32_e32 vcc_lo, 0x42b17218, v117
	v_ldexp_f32 v122, v122, v123
	v_cndmask_b32_e32 v118, 0x7f800000, v118, vcc_lo
	v_cmp_nlt_f32_e32 vcc_lo, 0x42b17218, v119
	v_cndmask_b32_e32 v117, 0x7f800000, v120, vcc_lo
	v_cmp_ngt_f32_e32 vcc_lo, 0xc2ce8ed0, v115
	v_cndmask_b32_e32 v119, 0, v121, vcc_lo
	v_cmp_ngt_f32_e32 vcc_lo, 0xc2ce8ed0, v116
	v_cvt_f16_f32_e32 v121, v118
	v_cndmask_b32_e32 v120, 0, v122, vcc_lo
	v_cmp_nlt_f32_e32 vcc_lo, 0x42b17218, v115
	v_cvt_f16_f32_e32 v122, v117
	ds_store_b16 v48, v121
	ds_store_b16 v48, v122 offset:256
	v_cndmask_b32_e32 v115, 0x7f800000, v119, vcc_lo
	v_cmp_nlt_f32_e32 vcc_lo, 0x42b17218, v116
	s_delay_alu instid0(VALU_DEP_2)
	v_fma_f32 v40, v40, v115, v118
	v_cndmask_b32_e32 v116, 0x7f800000, v120, vcc_lo
	ds_load_u16 v119, v74
	ds_load_u16 v120, v74 offset:256
	ds_load_u16 v121, v74 offset:8
	;; [unrolled: 1-line block ×15, first 2 shown]
	v_cvt_f16_f32_e32 v115, v115
	v_add_co_u32 v113, vcc_lo, v113, s11
	v_fma_f32 v41, v41, v116, v117
	v_cvt_f16_f32_e32 v116, v116
	v_add_co_ci_u32_e32 v114, vcc_lo, 0, v114, vcc_lo
	s_waitcnt vmcnt(7) lgkmcnt(15)
	v_pk_mul_f16 v135, v8, v119 op_sel_hi:[1,0]
	s_waitcnt lgkmcnt(14)
	v_pk_mul_f16 v8, v8, v120 op_sel_hi:[1,0]
	v_pk_mul_f16 v136, v9, v119 op_sel_hi:[1,0]
	;; [unrolled: 1-line block ×7, first 2 shown]
	v_pk_fma_f16 v4, v115, v4, v135 op_sel_hi:[0,1,1]
	v_pk_fma_f16 v5, v115, v5, v136 op_sel_hi:[0,1,1]
	;; [unrolled: 1-line block ×8, first 2 shown]
	s_waitcnt vmcnt(6) lgkmcnt(13)
	v_pk_fma_f16 v4, v16, v121, v4 op_sel_hi:[1,0,1]
	s_waitcnt lgkmcnt(6)
	v_pk_fma_f16 v0, v16, v128, v0 op_sel_hi:[1,0,1]
	v_pk_fma_f16 v5, v17, v121, v5 op_sel_hi:[1,0,1]
	v_pk_fma_f16 v1, v17, v128, v1 op_sel_hi:[1,0,1]
	v_pk_fma_f16 v6, v18, v121, v6 op_sel_hi:[1,0,1]
	v_pk_fma_f16 v2, v18, v128, v2 op_sel_hi:[1,0,1]
	v_pk_fma_f16 v7, v19, v121, v7 op_sel_hi:[1,0,1]
	v_pk_fma_f16 v3, v19, v128, v3 op_sel_hi:[1,0,1]
	s_waitcnt vmcnt(5)
	v_pk_fma_f16 v4, v12, v122, v4 op_sel_hi:[1,0,1]
	s_waitcnt lgkmcnt(5)
	v_pk_fma_f16 v0, v12, v129, v0 op_sel_hi:[1,0,1]
	v_pk_fma_f16 v5, v13, v122, v5 op_sel_hi:[1,0,1]
	v_pk_fma_f16 v1, v13, v129, v1 op_sel_hi:[1,0,1]
	v_pk_fma_f16 v6, v14, v122, v6 op_sel_hi:[1,0,1]
	v_pk_fma_f16 v2, v14, v129, v2 op_sel_hi:[1,0,1]
	v_pk_fma_f16 v7, v15, v122, v7 op_sel_hi:[1,0,1]
	v_pk_fma_f16 v3, v15, v129, v3 op_sel_hi:[1,0,1]
	s_waitcnt vmcnt(4)
	;; [unrolled: 10-line block ×4, first 2 shown]
	v_pk_fma_f16 v4, v32, v125, v4 op_sel_hi:[1,0,1]
	v_pk_fma_f16 v0, v32, v131, v0 op_sel_hi:[1,0,1]
	;; [unrolled: 1-line block ×8, first 2 shown]
	s_waitcnt vmcnt(1)
	v_pk_fma_f16 v4, v28, v126, v4 op_sel_hi:[1,0,1]
	v_pk_fma_f16 v0, v28, v132, v0 op_sel_hi:[1,0,1]
	;; [unrolled: 1-line block ×8, first 2 shown]
	s_waitcnt vmcnt(0)
	v_pk_fma_f16 v4, v36, v127, v4 op_sel_hi:[1,0,1]
	v_pk_fma_f16 v0, v36, v133, v0 op_sel_hi:[1,0,1]
	;; [unrolled: 1-line block ×8, first 2 shown]
	s_cbranch_scc1 .LBB9_44
; %bb.43:                               ;   in Loop: Header=BB9_10 Depth=1
	v_dual_mov_b32 v115, v42 :: v_dual_mov_b32 v116, v43
	s_branch .LBB9_10
.LBB9_44:
	ds_store_b128 v49, v[4:7]
	ds_store_b128 v49, v[0:3] offset:16
.LBB9_45:
	s_cmp_lg_u64 s[24:25], 0
	v_cmp_gt_u32_e32 vcc_lo, 2, v46
	s_cselect_b32 s0, -1, 0
	s_cmp_eq_u32 s14, 0
	s_cselect_b32 s1, -1, 0
	s_delay_alu instid0(SALU_CYCLE_1) | instskip(NEXT) | instid1(SALU_CYCLE_1)
	s_and_b32 s0, s1, s0
	s_and_b32 s0, vcc_lo, s0
	s_delay_alu instid0(SALU_CYCLE_1)
	s_and_saveexec_b32 s1, s0
	s_cbranch_execz .LBB9_47
; %bb.46:
	s_ashr_i32 s13, s12, 31
	v_cmp_eq_u32_e32 vcc_lo, 1, v46
	s_lshl_b64 s[4:5], s[12:13], 2
	v_lshl_add_u32 v9, v46, 4, v49
	s_add_u32 s4, s24, s4
	s_addc_u32 s5, s25, s5
	s_load_b32 s0, s[4:5], 0x0
	v_cndmask_b32_e32 v0, v42, v43, vcc_lo
	s_delay_alu instid0(VALU_DEP_1) | instskip(SKIP_2) | instid1(VALU_DEP_1)
	v_max_f32_e32 v1, v0, v0
	s_waitcnt lgkmcnt(0)
	v_max_f32_e64 v2, s0, s0
	v_max_f32_e32 v4, v2, v1
	s_delay_alu instid0(VALU_DEP_1) | instskip(SKIP_1) | instid1(VALU_DEP_1)
	v_sub_f32_e32 v5, s0, v4
	v_sub_f32_e32 v6, v0, v4
	v_dual_mul_f32 v0, 0x3fb8aa3b, v5 :: v_dual_mul_f32 v1, 0x3fb8aa3b, v6
	v_cmp_ngt_f32_e64 s0, 0xc2ce8ed0, v5
	v_cndmask_b32_e32 v43, v43, v4, vcc_lo
	s_delay_alu instid0(VALU_DEP_3) | instskip(SKIP_3) | instid1(VALU_DEP_4)
	v_fma_f32 v2, 0x3fb8aa3b, v5, -v0
	v_rndne_f32_e32 v3, v0
	v_fma_f32 v7, 0x3fb8aa3b, v6, -v1
	v_rndne_f32_e32 v8, v1
	v_fmac_f32_e32 v2, 0x32a5705f, v5
	s_delay_alu instid0(VALU_DEP_3) | instskip(NEXT) | instid1(VALU_DEP_3)
	v_dual_sub_f32 v0, v0, v3 :: v_dual_fmac_f32 v7, 0x32a5705f, v6
	v_sub_f32_e32 v1, v1, v8
	v_cvt_i32_f32_e32 v8, v8
	s_delay_alu instid0(VALU_DEP_2) | instskip(NEXT) | instid1(VALU_DEP_1)
	v_dual_add_f32 v0, v0, v2 :: v_dual_add_f32 v1, v1, v7
	v_exp_f32_e32 v0, v0
	s_delay_alu instid0(VALU_DEP_1)
	v_exp_f32_e32 v7, v1
	v_cvt_i32_f32_e32 v1, v3
	s_waitcnt_depctr 0xfff
	v_ldexp_f32 v10, v0, v1
	ds_load_b128 v[0:3], v9
	v_ldexp_f32 v7, v7, v8
	v_cndmask_b32_e64 v8, 0, v10, s0
	v_cmp_ngt_f32_e64 s0, 0xc2ce8ed0, v6
	s_delay_alu instid0(VALU_DEP_1) | instskip(SKIP_1) | instid1(VALU_DEP_1)
	v_cndmask_b32_e64 v7, 0, v7, s0
	v_cmp_nlt_f32_e64 s0, 0x42b17218, v5
	v_cndmask_b32_e64 v5, 0x7f800000, v8, s0
	v_cmp_nlt_f32_e64 s0, 0x42b17218, v6
	s_delay_alu instid0(VALU_DEP_1) | instskip(SKIP_2) | instid1(VALU_DEP_3)
	v_cndmask_b32_e64 v6, 0x7f800000, v7, s0
	v_cmp_eq_u32_e64 s0, 0, v44
	v_cndmask_b32_e32 v7, v40, v41, vcc_lo
	v_cvt_f16_f32_e32 v8, v6
	s_delay_alu instid0(VALU_DEP_3) | instskip(SKIP_2) | instid1(VALU_DEP_3)
	v_cndmask_b32_e64 v5, 0, v5, s0
	v_cmp_eq_u32_e64 s0, 0, v46
	s_waitcnt lgkmcnt(0)
	v_pk_mul_f16 v0, v8, v0 op_sel_hi:[0,1]
	s_delay_alu instid0(VALU_DEP_3) | instskip(NEXT) | instid1(VALU_DEP_3)
	v_fmac_f32_e32 v5, v7, v6
	v_cndmask_b32_e64 v42, v42, v4, s0
	v_pk_mul_f16 v1, v8, v1 op_sel_hi:[0,1]
	v_pk_mul_f16 v2, v8, v2 op_sel_hi:[0,1]
	;; [unrolled: 1-line block ×3, first 2 shown]
	v_cndmask_b32_e32 v41, v41, v5, vcc_lo
	v_cndmask_b32_e64 v40, v40, v5, s0
	ds_store_b128 v9, v[0:3]
.LBB9_47:
	s_or_b32 exec_lo, exec_lo, s1
	s_delay_alu instid0(SALU_CYCLE_1)
	s_mov_b32 s0, exec_lo
	v_cmpx_eq_u32_e32 0, v46
	s_cbranch_execz .LBB9_49
; %bb.48:
	v_mov_b32_e32 v0, 0xfeffffff
	v_dual_mov_b32 v2, 0 :: v_dual_add_nc_u32 v1, 0x800, v47
	ds_store_2addr_b32 v1, v0, v0 offset1:32
	ds_store_2addr_b32 v1, v2, v2 offset0:64 offset1:96
.LBB9_49:
	s_or_b32 exec_lo, exec_lo, s0
	v_cmp_eq_u32_e64 s0, 0, v44
	s_waitcnt lgkmcnt(0)
	s_barrier
	buffer_gl0_inv
	s_and_saveexec_b32 s1, s0
	s_cbranch_execz .LBB9_51
; %bb.50:
	v_lshlrev_b32_e32 v0, 2, v46
	s_delay_alu instid0(VALU_DEP_1)
	v_add_nc_u32_e32 v0, 0x800, v0
	ds_store_2addr_b32 v0, v42, v43 offset1:32
.LBB9_51:
	s_or_b32 exec_lo, exec_lo, s1
	s_delay_alu instid0(SALU_CYCLE_1)
	s_and_not1_b32 vcc_lo, exec_lo, s42
	s_waitcnt lgkmcnt(0)
	s_barrier
	buffer_gl0_inv
	s_cbranch_vccnz .LBB9_53
; %bb.52:
	s_add_u32 s4, s2, 0xd0
	s_addc_u32 s5, s3, 0
	s_cbranch_execz .LBB9_54
	s_branch .LBB9_66
.LBB9_53:
                                        ; implicit-def: $sgpr4_sgpr5
.LBB9_54:
	ds_load_b32 v0, v47 offset:2048
	v_xor_b32_e32 v1, 16, v51
	v_xor_b32_e32 v2, 8, v51
	s_delay_alu instid0(VALU_DEP_2) | instskip(SKIP_1) | instid1(VALU_DEP_3)
	v_cmp_gt_i32_e32 vcc_lo, 32, v1
	v_cndmask_b32_e32 v1, v51, v1, vcc_lo
	v_cmp_gt_i32_e32 vcc_lo, 32, v2
	s_delay_alu instid0(VALU_DEP_2)
	v_lshlrev_b32_e32 v4, 2, v1
	s_waitcnt lgkmcnt(0)
	ds_bpermute_b32 v1, v4, v0
	v_cndmask_b32_e32 v2, v51, v2, vcc_lo
	s_waitcnt lgkmcnt(0)
	v_dual_max_f32 v0, v0, v0 :: v_dual_max_f32 v1, v1, v1
	s_delay_alu instid0(VALU_DEP_2) | instskip(SKIP_1) | instid1(VALU_DEP_3)
	v_lshlrev_b32_e32 v5, 2, v2
	v_xor_b32_e32 v2, 4, v51
	v_max_f32_e32 v0, v0, v1
	s_delay_alu instid0(VALU_DEP_2) | instskip(SKIP_3) | instid1(VALU_DEP_1)
	v_cmp_gt_i32_e32 vcc_lo, 32, v2
	ds_bpermute_b32 v1, v5, v0
	s_waitcnt lgkmcnt(0)
	v_dual_cndmask_b32 v2, v51, v2 :: v_dual_max_f32 v1, v1, v1
	v_lshlrev_b32_e32 v6, 2, v2
	v_xor_b32_e32 v2, 2, v51
	s_delay_alu instid0(VALU_DEP_1) | instskip(SKIP_1) | instid1(VALU_DEP_1)
	v_cmp_gt_i32_e32 vcc_lo, 32, v2
	v_cndmask_b32_e32 v2, v51, v2, vcc_lo
	v_dual_max_f32 v0, v0, v1 :: v_dual_lshlrev_b32 v3, 2, v2
	ds_bpermute_b32 v1, v6, v0
	v_xor_b32_e32 v2, 1, v51
	s_delay_alu instid0(VALU_DEP_1) | instskip(SKIP_2) | instid1(VALU_DEP_1)
	v_cmp_gt_i32_e32 vcc_lo, 32, v2
	v_cndmask_b32_e32 v2, v51, v2, vcc_lo
	s_waitcnt lgkmcnt(0)
	v_dual_max_f32 v1, v1, v1 :: v_dual_lshlrev_b32 v2, 2, v2
	s_delay_alu instid0(VALU_DEP_1) | instskip(SKIP_3) | instid1(VALU_DEP_1)
	v_max_f32_e32 v0, v0, v1
	ds_bpermute_b32 v1, v3, v0
	s_waitcnt lgkmcnt(0)
	v_max_f32_e32 v1, v1, v1
	v_max_f32_e32 v0, v0, v1
	ds_bpermute_b32 v1, v2, v0
	s_waitcnt lgkmcnt(0)
	v_max_f32_e32 v1, v1, v1
	s_delay_alu instid0(VALU_DEP_1) | instskip(NEXT) | instid1(VALU_DEP_1)
	v_max_f32_e32 v0, v0, v1
	v_sub_f32_e32 v1, v42, v0
	s_delay_alu instid0(VALU_DEP_1) | instskip(SKIP_1) | instid1(VALU_DEP_2)
	v_mul_f32_e32 v7, 0x3fb8aa3b, v1
	v_cmp_ngt_f32_e32 vcc_lo, 0xc2ce8ed0, v1
	v_fma_f32 v8, 0x3fb8aa3b, v1, -v7
	v_rndne_f32_e32 v9, v7
	s_delay_alu instid0(VALU_DEP_1) | instskip(NEXT) | instid1(VALU_DEP_1)
	v_dual_fmamk_f32 v8, v1, 0x32a5705f, v8 :: v_dual_sub_f32 v7, v7, v9
	v_add_f32_e32 v7, v7, v8
	v_cvt_i32_f32_e32 v8, v9
	s_delay_alu instid0(VALU_DEP_2) | instskip(SKIP_2) | instid1(VALU_DEP_1)
	v_exp_f32_e32 v7, v7
	s_waitcnt_depctr 0xfff
	v_ldexp_f32 v7, v7, v8
	v_cndmask_b32_e32 v7, 0, v7, vcc_lo
	v_cmp_nlt_f32_e32 vcc_lo, 0x42b17218, v1
	s_delay_alu instid0(VALU_DEP_2) | instskip(NEXT) | instid1(VALU_DEP_1)
	v_cndmask_b32_e32 v1, 0x7f800000, v7, vcc_lo
	v_mul_f32_e32 v7, v40, v1
	ds_bpermute_b32 v7, v4, v7
	s_waitcnt lgkmcnt(0)
	v_fmac_f32_e32 v7, v40, v1
	v_cvt_f16_f32_e32 v1, v1
	ds_bpermute_b32 v8, v5, v7
	s_waitcnt lgkmcnt(0)
	v_add_f32_e32 v7, v7, v8
	ds_bpermute_b32 v8, v6, v7
	s_waitcnt lgkmcnt(0)
	v_add_f32_e32 v11, v7, v8
	ds_load_b128 v[7:10], v49
	ds_bpermute_b32 v12, v3, v11
	s_waitcnt lgkmcnt(1)
	v_pk_mul_f16 v13, v1, v9 op_sel_hi:[0,1]
	v_pk_mul_f16 v14, v1, v10 op_sel_hi:[0,1]
	s_waitcnt lgkmcnt(0)
	v_add_f32_e32 v15, v11, v12
	v_and_b32_e32 v11, 0x1e0, v47
	v_pk_mul_f16 v12, v1, v8 op_sel_hi:[0,1]
	ds_bpermute_b32 v16, v2, v15
	v_lshlrev_b32_e32 v11, 2, v11
	s_delay_alu instid0(VALU_DEP_1) | instskip(SKIP_1) | instid1(VALU_DEP_2)
	v_lshl_add_u32 v17, v46, 9, v11
	v_pk_mul_f16 v11, v1, v7 op_sel_hi:[0,1]
	v_lshl_or_b32 v7, v50, 2, v17
	ds_store_b128 v49, v[11:14]
	ds_store_b128 v7, v[11:14]
	s_waitcnt lgkmcnt(2)
	v_add_f32_e32 v40, v15, v16
	s_and_saveexec_b32 s1, s0
	s_cbranch_execz .LBB9_56
; %bb.55:
	v_lshlrev_b32_e32 v1, 2, v46
	ds_store_b32 v1, v40 offset:2304
.LBB9_56:
	s_or_b32 exec_lo, exec_lo, s1
	v_cmp_gt_u32_e64 s1, 64, v45
	s_add_u32 s4, s2, 0xd0
	s_mul_i32 s2, s33, s34
	s_addc_u32 s5, s3, 0
	s_add_i32 s2, s2, s15
	s_waitcnt lgkmcnt(0)
	s_barrier
	buffer_gl0_inv
	s_and_saveexec_b32 s3, s1
	s_cbranch_execz .LBB9_58
; %bb.57:
	ds_load_b32 v1, v47 offset:2304
	ds_load_u16 v8, v48
	ds_load_u16 v9, v48 offset:128
	ds_load_u16 v10, v48 offset:256
	;; [unrolled: 1-line block ×6, first 2 shown]
	s_mul_i32 s7, s2, s35
	s_waitcnt lgkmcnt(7)
	ds_bpermute_b32 v15, v4, v1
	s_waitcnt lgkmcnt(7)
	v_cvt_f32_f16_e32 v8, v8
	s_waitcnt lgkmcnt(6)
	v_cvt_f32_f16_e32 v9, v9
	;; [unrolled: 2-line block ×7, first 2 shown]
	v_add_f32_e32 v8, 0, v8
	s_waitcnt lgkmcnt(0)
	s_delay_alu instid0(VALU_DEP_1)
	v_dual_add_f32 v8, v8, v9 :: v_dual_add_f32 v1, v1, v15
	ds_bpermute_b32 v15, v5, v1
	s_waitcnt lgkmcnt(0)
	v_add_f32_e32 v1, v1, v15
	ds_bpermute_b32 v9, v6, v1
	v_add_f32_e32 v8, v8, v10
	ds_load_u16 v10, v48 offset:896
	s_waitcnt lgkmcnt(1)
	v_dual_add_f32 v1, v1, v9 :: v_dual_add_f32 v8, v8, v11
	ds_load_u16 v11, v48 offset:1024
	v_add_f32_e32 v8, v8, v12
	ds_load_u16 v12, v48 offset:1152
	s_waitcnt lgkmcnt(2)
	v_cvt_f32_f16_e32 v10, v10
	v_add_f32_e32 v8, v8, v13
	ds_load_u16 v9, v48 offset:1280
	ds_load_u16 v13, v48 offset:1408
	;; [unrolled: 1-line block ×5, first 2 shown]
	s_load_b32 s6, s[4:5], 0x4
	v_add_f32_e32 v8, v8, v14
	ds_bpermute_b32 v14, v3, v1
	v_add_f32_e32 v8, v8, v10
	s_waitcnt lgkmcnt(0)
	v_cvt_f32_f16_e32 v11, v11
	v_cvt_f32_f16_e32 v10, v12
	s_delay_alu instid0(VALU_DEP_2) | instskip(SKIP_3) | instid1(VALU_DEP_4)
	v_add_f32_e32 v8, v8, v11
	v_cvt_f32_f16_e32 v9, v9
	v_cvt_f32_f16_e32 v11, v13
	;; [unrolled: 1-line block ×3, first 2 shown]
	v_add_f32_e32 v8, v8, v10
	ds_load_u16 v10, v48 offset:1920
	s_cmp_eq_u32 s6, 1
	v_dual_add_f32 v1, v1, v14 :: v_dual_add_f32 v8, v8, v9
	v_cvt_f32_f16_e32 v9, v15
	s_delay_alu instid0(VALU_DEP_2) | instskip(SKIP_3) | instid1(VALU_DEP_2)
	v_add_f32_e32 v8, v8, v11
	ds_bpermute_b32 v11, v2, v1
	v_add_f32_e32 v8, v8, v9
	v_cvt_f32_f16_e32 v9, v17
	v_add_f32_e32 v8, v8, v12
	s_waitcnt lgkmcnt(1)
	v_cvt_f32_f16_e32 v10, v10
	s_delay_alu instid0(VALU_DEP_2) | instskip(NEXT) | instid1(VALU_DEP_1)
	v_add_f32_e32 v8, v8, v9
	v_add_f32_e32 v10, v8, v10
	s_waitcnt lgkmcnt(0)
	v_add_f32_e32 v40, v1, v11
	s_delay_alu instid0(VALU_DEP_1) | instskip(SKIP_1) | instid1(VALU_DEP_2)
	v_div_scale_f32 v1, null, v40, v40, v10
	v_div_scale_f32 v11, vcc_lo, v10, v40, v10
	v_rcp_f32_e32 v8, v1
	s_waitcnt_depctr 0xfff
	v_fma_f32 v9, -v1, v8, 1.0
	s_delay_alu instid0(VALU_DEP_1) | instskip(NEXT) | instid1(VALU_DEP_1)
	v_fmac_f32_e32 v8, v9, v8
	v_mul_f32_e32 v9, v11, v8
	s_delay_alu instid0(VALU_DEP_1) | instskip(NEXT) | instid1(VALU_DEP_1)
	v_fma_f32 v12, -v1, v9, v11
	v_fmac_f32_e32 v9, v12, v8
	s_delay_alu instid0(VALU_DEP_1) | instskip(NEXT) | instid1(VALU_DEP_1)
	v_fma_f32 v1, -v1, v9, v11
	v_div_fmas_f32 v1, v1, v8, v9
	s_cselect_b32 vcc_lo, -1, 0
	s_add_i32 s7, s7, s12
	v_mov_b32_e32 v9, 0
	s_mul_i32 s6, s6, s7
	v_div_fixup_f32 v1, v1, v40, v10
	s_add_i32 s6, s6, s14
	s_delay_alu instid0(SALU_CYCLE_1) | instskip(NEXT) | instid1(VALU_DEP_2)
	v_lshl_or_b32 v8, s6, 6, v45
	v_cndmask_b32_e32 v1, v10, v1, vcc_lo
	s_delay_alu instid0(VALU_DEP_2) | instskip(NEXT) | instid1(VALU_DEP_1)
	v_lshlrev_b64 v[8:9], 2, v[8:9]
	v_add_co_u32 v8, vcc_lo, s28, v8
	s_delay_alu instid0(VALU_DEP_2)
	v_add_co_ci_u32_e32 v9, vcc_lo, s29, v9, vcc_lo
	global_store_b32 v[8:9], v1, off
.LBB9_58:
	s_or_b32 exec_lo, exec_lo, s3
	s_delay_alu instid0(SALU_CYCLE_1)
	s_and_not1_b32 vcc_lo, exec_lo, s41
	s_waitcnt_vscnt null, 0x0
	s_barrier
	buffer_gl0_inv
	s_cbranch_vccnz .LBB9_64
; %bb.59:
	v_or_b32_e32 v1, 0x800, v47
	ds_load_b32 v1, v1 offset:128
	s_waitcnt lgkmcnt(0)
	ds_bpermute_b32 v8, v4, v1
	s_waitcnt lgkmcnt(0)
	v_dual_max_f32 v1, v1, v1 :: v_dual_max_f32 v8, v8, v8
	s_delay_alu instid0(VALU_DEP_1) | instskip(SKIP_3) | instid1(VALU_DEP_1)
	v_max_f32_e32 v1, v1, v8
	ds_bpermute_b32 v8, v5, v1
	s_waitcnt lgkmcnt(0)
	v_max_f32_e32 v8, v8, v8
	v_max_f32_e32 v1, v1, v8
	ds_bpermute_b32 v8, v6, v1
	s_waitcnt lgkmcnt(0)
	v_max_f32_e32 v8, v8, v8
	s_delay_alu instid0(VALU_DEP_1) | instskip(SKIP_3) | instid1(VALU_DEP_1)
	v_max_f32_e32 v1, v1, v8
	ds_bpermute_b32 v8, v3, v1
	s_waitcnt lgkmcnt(0)
	v_max_f32_e32 v8, v8, v8
	v_max_f32_e32 v1, v1, v8
	ds_bpermute_b32 v8, v2, v1
	s_waitcnt lgkmcnt(0)
	v_max_f32_e32 v8, v8, v8
	s_delay_alu instid0(VALU_DEP_1) | instskip(NEXT) | instid1(VALU_DEP_1)
	v_max_f32_e32 v1, v1, v8
	v_sub_f32_e32 v8, v43, v1
	s_delay_alu instid0(VALU_DEP_1) | instskip(SKIP_1) | instid1(VALU_DEP_2)
	v_mul_f32_e32 v9, 0x3fb8aa3b, v8
	v_cmp_ngt_f32_e32 vcc_lo, 0xc2ce8ed0, v8
	v_fma_f32 v10, 0x3fb8aa3b, v8, -v9
	v_rndne_f32_e32 v11, v9
	s_delay_alu instid0(VALU_DEP_1) | instskip(NEXT) | instid1(VALU_DEP_1)
	v_dual_fmamk_f32 v10, v8, 0x32a5705f, v10 :: v_dual_sub_f32 v9, v9, v11
	v_add_f32_e32 v9, v9, v10
	v_cvt_i32_f32_e32 v10, v11
	s_delay_alu instid0(VALU_DEP_2) | instskip(SKIP_2) | instid1(VALU_DEP_1)
	v_exp_f32_e32 v9, v9
	s_waitcnt_depctr 0xfff
	v_ldexp_f32 v9, v9, v10
	v_cndmask_b32_e32 v9, 0, v9, vcc_lo
	v_cmp_nlt_f32_e32 vcc_lo, 0x42b17218, v8
	s_delay_alu instid0(VALU_DEP_2) | instskip(NEXT) | instid1(VALU_DEP_1)
	v_cndmask_b32_e32 v12, 0x7f800000, v9, vcc_lo
	v_mul_f32_e32 v8, v41, v12
	ds_bpermute_b32 v8, v4, v8
	s_waitcnt lgkmcnt(0)
	v_fmac_f32_e32 v8, v41, v12
	v_cvt_f16_f32_e32 v12, v12
	ds_bpermute_b32 v9, v5, v8
	s_waitcnt lgkmcnt(0)
	v_add_f32_e32 v8, v8, v9
	ds_bpermute_b32 v9, v6, v8
	s_waitcnt lgkmcnt(0)
	v_add_f32_e32 v13, v8, v9
	ds_load_b128 v[8:11], v49 offset:16
	ds_bpermute_b32 v14, v3, v13
	s_waitcnt lgkmcnt(1)
	v_pk_mul_f16 v8, v12, v8 op_sel_hi:[0,1]
	v_pk_mul_f16 v9, v12, v9 op_sel_hi:[0,1]
	;; [unrolled: 1-line block ×4, first 2 shown]
	s_waitcnt lgkmcnt(0)
	v_add_f32_e32 v13, v13, v14
	ds_store_b128 v49, v[8:11] offset:16
	ds_store_b128 v7, v[8:11]
	ds_bpermute_b32 v14, v2, v13
	s_waitcnt lgkmcnt(0)
	v_add_f32_e32 v41, v13, v14
	s_and_saveexec_b32 s3, s0
	s_cbranch_execz .LBB9_61
; %bb.60:
	v_lshlrev_b32_e32 v7, 2, v46
	ds_store_b32 v7, v41 offset:2432
.LBB9_61:
	s_or_b32 exec_lo, exec_lo, s3
	s_waitcnt lgkmcnt(0)
	s_barrier
	buffer_gl0_inv
	s_and_saveexec_b32 s0, s1
	s_cbranch_execz .LBB9_63
; %bb.62:
	ds_load_b32 v7, v47 offset:2432
	ds_load_u16 v8, v48
	ds_load_u16 v9, v48 offset:128
	ds_load_u16 v10, v48 offset:256
	;; [unrolled: 1-line block ×6, first 2 shown]
	s_add_i32 s2, s2, 1
	s_delay_alu instid0(SALU_CYCLE_1) | instskip(NEXT) | instid1(SALU_CYCLE_1)
	s_mul_i32 s2, s2, s35
	s_add_i32 s2, s2, s12
	s_waitcnt lgkmcnt(7)
	ds_bpermute_b32 v4, v4, v7
	s_waitcnt lgkmcnt(0)
	v_add_f32_e32 v4, v7, v4
	v_cvt_f32_f16_e32 v7, v8
	v_cvt_f32_f16_e32 v8, v9
	;; [unrolled: 1-line block ×3, first 2 shown]
	s_delay_alu instid0(VALU_DEP_3)
	v_add_f32_e32 v7, 0, v7
	ds_bpermute_b32 v5, v5, v4
	v_add_f32_e32 v7, v7, v8
	v_cvt_f32_f16_e32 v8, v11
	v_cvt_f32_f16_e32 v11, v14
	s_waitcnt lgkmcnt(0)
	v_add_f32_e32 v4, v4, v5
	v_cvt_f32_f16_e32 v5, v10
	v_cvt_f32_f16_e32 v10, v13
	ds_bpermute_b32 v6, v6, v4
	v_add_f32_e32 v5, v7, v5
	ds_load_u16 v7, v48 offset:896
	s_waitcnt lgkmcnt(1)
	v_dual_add_f32 v4, v4, v6 :: v_dual_add_f32 v5, v5, v8
	ds_load_u16 v8, v48 offset:1024
	ds_bpermute_b32 v3, v3, v4
	v_add_f32_e32 v5, v5, v9
	ds_load_u16 v9, v48 offset:1152
	s_waitcnt lgkmcnt(3)
	v_cvt_f32_f16_e32 v7, v7
	v_add_f32_e32 v5, v5, v10
	ds_load_u16 v6, v48 offset:1280
	ds_load_u16 v10, v48 offset:1408
	;; [unrolled: 1-line block ×5, first 2 shown]
	s_load_b32 s1, s[4:5], 0x4
	v_add_f32_e32 v5, v5, v11
	s_delay_alu instid0(VALU_DEP_1) | instskip(SKIP_3) | instid1(VALU_DEP_2)
	v_add_f32_e32 v5, v5, v7
	s_waitcnt lgkmcnt(0)
	v_cvt_f32_f16_e32 v8, v8
	v_cvt_f32_f16_e32 v7, v9
	v_add_f32_e32 v5, v5, v8
	v_cvt_f32_f16_e32 v6, v6
	v_cvt_f32_f16_e32 v8, v10
	s_delay_alu instid0(VALU_DEP_3)
	v_add_f32_e32 v5, v5, v7
	ds_load_u16 v7, v48 offset:1920
	s_cmp_eq_u32 s1, 1
	s_mul_i32 s1, s1, s2
	v_add_f32_e32 v5, v5, v6
	v_cvt_f32_f16_e32 v6, v13
	s_delay_alu instid0(VALU_DEP_2) | instskip(SKIP_2) | instid1(VALU_DEP_1)
	v_add_f32_e32 v5, v5, v8
	v_add_f32_e32 v3, v4, v3
	v_cvt_f32_f16_e32 v4, v12
	v_add_f32_e32 v4, v5, v4
	ds_bpermute_b32 v2, v2, v3
	v_cvt_f32_f16_e32 v5, v14
	v_add_f32_e32 v4, v4, v6
	s_waitcnt lgkmcnt(1)
	v_cvt_f32_f16_e32 v6, v7
	s_waitcnt lgkmcnt(0)
	s_delay_alu instid0(VALU_DEP_2) | instskip(NEXT) | instid1(VALU_DEP_1)
	v_dual_add_f32 v4, v4, v5 :: v_dual_add_f32 v41, v3, v2
	v_add_f32_e32 v4, v4, v6
	s_delay_alu instid0(VALU_DEP_1) | instskip(SKIP_1) | instid1(VALU_DEP_2)
	v_div_scale_f32 v2, null, v41, v41, v4
	v_div_scale_f32 v6, vcc_lo, v4, v41, v4
	v_rcp_f32_e32 v3, v2
	s_waitcnt_depctr 0xfff
	v_fma_f32 v5, -v2, v3, 1.0
	s_delay_alu instid0(VALU_DEP_1) | instskip(NEXT) | instid1(VALU_DEP_1)
	v_fmac_f32_e32 v3, v5, v3
	v_mul_f32_e32 v5, v6, v3
	s_delay_alu instid0(VALU_DEP_1) | instskip(NEXT) | instid1(VALU_DEP_1)
	v_fma_f32 v7, -v2, v5, v6
	v_fmac_f32_e32 v5, v7, v3
	s_delay_alu instid0(VALU_DEP_1) | instskip(NEXT) | instid1(VALU_DEP_1)
	v_fma_f32 v2, -v2, v5, v6
	v_div_fmas_f32 v2, v2, v3, v5
	s_cselect_b32 vcc_lo, -1, 0
	s_add_i32 s1, s1, s14
	v_mov_b32_e32 v3, 0
	s_delay_alu instid0(VALU_DEP_2) | instskip(SKIP_1) | instid1(VALU_DEP_2)
	v_div_fixup_f32 v5, v2, v41, v4
	v_lshl_or_b32 v2, s1, 6, v45
	v_cndmask_b32_e32 v4, v4, v5, vcc_lo
	s_delay_alu instid0(VALU_DEP_2) | instskip(NEXT) | instid1(VALU_DEP_1)
	v_lshlrev_b64 v[2:3], 2, v[2:3]
	v_add_co_u32 v2, vcc_lo, s28, v2
	s_delay_alu instid0(VALU_DEP_2)
	v_add_co_ci_u32_e32 v3, vcc_lo, s29, v3, vcc_lo
	global_store_b32 v[2:3], v4, off
.LBB9_63:
	s_or_b32 exec_lo, exec_lo, s0
	s_branch .LBB9_65
.LBB9_64:
	v_mov_b32_e32 v1, v43
.LBB9_65:
	s_delay_alu instid0(VALU_DEP_1)
	v_dual_mov_b32 v43, v1 :: v_dual_mov_b32 v42, v0
.LBB9_66:
	s_load_b32 s1, s[4:5], 0x4
	v_or_b32_e32 v0, s15, v44
	v_cmp_gt_u32_e32 vcc_lo, 2, v45
	s_delay_alu instid0(VALU_DEP_2) | instskip(SKIP_3) | instid1(SALU_CYCLE_1)
	v_cmp_gt_i32_e64 s0, s34, v0
	s_waitcnt lgkmcnt(0)
	s_cmp_lg_u32 s1, 1
	s_cselect_b32 s2, -1, 0
	s_and_b32 s2, vcc_lo, s2
	s_delay_alu instid0(SALU_CYCLE_1) | instskip(NEXT) | instid1(SALU_CYCLE_1)
	s_and_b32 s0, s2, s0
	s_and_saveexec_b32 s2, s0
	s_cbranch_execz .LBB9_68
; %bb.67:
	v_mad_u64_u32 v[1:2], null, s33, s34, v[0:1]
	v_cmp_eq_u32_e32 vcc_lo, 1, v45
	s_delay_alu instid0(VALU_DEP_2) | instskip(SKIP_1) | instid1(VALU_DEP_2)
	v_mad_u64_u32 v[2:3], null, v1, s35, s[12:13]
	v_cndmask_b32_e32 v3, v40, v41, vcc_lo
	v_mad_u64_u32 v[0:1], null, s1, v2, s[14:15]
	v_dual_mov_b32 v1, 0 :: v_dual_cndmask_b32 v2, v42, v43
	s_delay_alu instid0(VALU_DEP_1) | instskip(NEXT) | instid1(VALU_DEP_1)
	v_lshlrev_b64 v[0:1], 3, v[0:1]
	v_add_co_u32 v0, vcc_lo, s30, v0
	s_delay_alu instid0(VALU_DEP_2)
	v_add_co_ci_u32_e32 v1, vcc_lo, s31, v1, vcc_lo
	global_store_b64 v[0:1], v[2:3], off
.LBB9_68:
	s_nop 0
	s_sendmsg sendmsg(MSG_DEALLOC_VGPRS)
	s_endpgm
	.section	.rodata,"a",@progbits
	.p2align	6, 0x0
	.amdhsa_kernel _ZL18flash_attn_ext_vecILi64ELi2EL9ggml_type30ELS0_1ELb0EEvPKcS2_S2_S2_S2_PKiPfP15HIP_vector_typeIfLj2EEffffjfiS6_IjLj3EEiiiiiiiiiiiliiliiiiil
		.amdhsa_group_segment_fixed_size 6656
		.amdhsa_private_segment_fixed_size 0
		.amdhsa_kernarg_size 464
		.amdhsa_user_sgpr_count 13
		.amdhsa_user_sgpr_dispatch_ptr 1
		.amdhsa_user_sgpr_queue_ptr 0
		.amdhsa_user_sgpr_kernarg_segment_ptr 1
		.amdhsa_user_sgpr_dispatch_id 0
		.amdhsa_user_sgpr_private_segment_size 0
		.amdhsa_wavefront_size32 1
		.amdhsa_uses_dynamic_stack 0
		.amdhsa_enable_private_segment 0
		.amdhsa_system_sgpr_workgroup_id_x 1
		.amdhsa_system_sgpr_workgroup_id_y 1
		.amdhsa_system_sgpr_workgroup_id_z 1
		.amdhsa_system_sgpr_workgroup_info 0
		.amdhsa_system_vgpr_workitem_id 2
		.amdhsa_next_free_vgpr 147
		.amdhsa_next_free_sgpr 60
		.amdhsa_reserve_vcc 1
		.amdhsa_float_round_mode_32 0
		.amdhsa_float_round_mode_16_64 0
		.amdhsa_float_denorm_mode_32 3
		.amdhsa_float_denorm_mode_16_64 3
		.amdhsa_dx10_clamp 1
		.amdhsa_ieee_mode 1
		.amdhsa_fp16_overflow 0
		.amdhsa_workgroup_processor_mode 1
		.amdhsa_memory_ordered 1
		.amdhsa_forward_progress 0
		.amdhsa_shared_vgpr_count 0
		.amdhsa_exception_fp_ieee_invalid_op 0
		.amdhsa_exception_fp_denorm_src 0
		.amdhsa_exception_fp_ieee_div_zero 0
		.amdhsa_exception_fp_ieee_overflow 0
		.amdhsa_exception_fp_ieee_underflow 0
		.amdhsa_exception_fp_ieee_inexact 0
		.amdhsa_exception_int_div_zero 0
	.end_amdhsa_kernel
	.section	.text._ZL18flash_attn_ext_vecILi64ELi2EL9ggml_type30ELS0_1ELb0EEvPKcS2_S2_S2_S2_PKiPfP15HIP_vector_typeIfLj2EEffffjfiS6_IjLj3EEiiiiiiiiiiiliiliiiiil,"axG",@progbits,_ZL18flash_attn_ext_vecILi64ELi2EL9ggml_type30ELS0_1ELb0EEvPKcS2_S2_S2_S2_PKiPfP15HIP_vector_typeIfLj2EEffffjfiS6_IjLj3EEiiiiiiiiiiiliiliiiiil,comdat
.Lfunc_end9:
	.size	_ZL18flash_attn_ext_vecILi64ELi2EL9ggml_type30ELS0_1ELb0EEvPKcS2_S2_S2_S2_PKiPfP15HIP_vector_typeIfLj2EEffffjfiS6_IjLj3EEiiiiiiiiiiiliiliiiiil, .Lfunc_end9-_ZL18flash_attn_ext_vecILi64ELi2EL9ggml_type30ELS0_1ELb0EEvPKcS2_S2_S2_S2_PKiPfP15HIP_vector_typeIfLj2EEffffjfiS6_IjLj3EEiiiiiiiiiiiliiliiiiil
                                        ; -- End function
	.section	.AMDGPU.csdata,"",@progbits
; Kernel info:
; codeLenInByte = 11468
; NumSgprs: 62
; NumVgprs: 147
; ScratchSize: 0
; MemoryBound: 0
; FloatMode: 240
; IeeeMode: 1
; LDSByteSize: 6656 bytes/workgroup (compile time only)
; SGPRBlocks: 7
; VGPRBlocks: 18
; NumSGPRsForWavesPerEU: 62
; NumVGPRsForWavesPerEU: 147
; Occupancy: 9
; WaveLimiterHint : 1
; COMPUTE_PGM_RSRC2:SCRATCH_EN: 0
; COMPUTE_PGM_RSRC2:USER_SGPR: 13
; COMPUTE_PGM_RSRC2:TRAP_HANDLER: 0
; COMPUTE_PGM_RSRC2:TGID_X_EN: 1
; COMPUTE_PGM_RSRC2:TGID_Y_EN: 1
; COMPUTE_PGM_RSRC2:TGID_Z_EN: 1
; COMPUTE_PGM_RSRC2:TIDIG_COMP_CNT: 2
	.section	.text._ZL25flash_attn_mask_to_KV_maxILi2EEvPK7__half2Piiii,"axG",@progbits,_ZL25flash_attn_mask_to_KV_maxILi2EEvPK7__half2Piiii,comdat
	.globl	_ZL25flash_attn_mask_to_KV_maxILi2EEvPK7__half2Piiii ; -- Begin function _ZL25flash_attn_mask_to_KV_maxILi2EEvPK7__half2Piiii
	.p2align	8
	.type	_ZL25flash_attn_mask_to_KV_maxILi2EEvPK7__half2Piiii,@function
_ZL25flash_attn_mask_to_KV_maxILi2EEvPK7__half2Piiii: ; @_ZL25flash_attn_mask_to_KV_maxILi2EEvPK7__half2Piiii
; %bb.0:
	s_load_b128 s[4:7], s[0:1], 0x0
	s_mov_b32 s2, exec_lo
	v_cmpx_gt_u32_e32 32, v0
	s_cbranch_execz .LBB10_2
; %bb.1:
	v_dual_mov_b32 v2, 1 :: v_dual_lshlrev_b32 v1, 2, v0
	ds_store_b32 v1, v2
.LBB10_2:
	s_or_b32 exec_lo, exec_lo, s2
	s_clause 0x1
	s_load_b128 s[8:11], s[0:1], 0x10
	s_load_b32 s1, s[0:1], 0x20
	v_dual_mov_b32 v2, 0 :: v_dual_and_b32 v1, 31, v0
	v_lshrrev_b32_e32 v3, 3, v0
	s_waitcnt lgkmcnt(0)
	s_barrier
	s_delay_alu instid0(VALU_DEP_2) | instskip(SKIP_4) | instid1(SALU_CYCLE_1)
	v_lshlrev_b32_e32 v4, 2, v1
	buffer_gl0_inv
	s_mul_i32 s0, s14, s9
	s_mul_i32 s2, s15, s10
	s_lshl_b32 s0, s0, 1
	s_add_i32 s2, s2, s0
	v_cmp_eq_u32_e64 s0, 0, v1
	s_ashr_i32 s3, s2, 31
	s_delay_alu instid0(SALU_CYCLE_1) | instskip(NEXT) | instid1(SALU_CYCLE_1)
	s_lshl_b64 s[10:11], s[2:3], 2
	s_add_u32 s3, s4, s10
	s_addc_u32 s4, s5, s11
	s_lshl_b32 s5, s8, 8
	s_branch .LBB10_4
.LBB10_3:                               ;   in Loop: Header=BB10_4 Depth=1
	s_or_b32 exec_lo, exec_lo, s10
	s_waitcnt lgkmcnt(0)
	s_barrier
	buffer_gl0_inv
	ds_load_b32 v1, v4
	s_waitcnt lgkmcnt(0)
	s_barrier
	buffer_gl0_inv
	;;#ASMSTART
	;;#ASMEND
	v_cmp_ne_u32_e32 vcc_lo, 0, v1
	s_cmp_lg_u32 vcc_lo, exec_lo
	s_cselect_b32 s8, -1, 0
	s_delay_alu instid0(SALU_CYCLE_1)
	s_and_b32 vcc_lo, exec_lo, s8
	s_cbranch_vccnz .LBB10_12
.LBB10_4:                               ; =>This Inner Loop Header: Depth=1
	s_mov_b32 s2, s5
	s_addk_i32 s5, 0xff00
	s_delay_alu instid0(SALU_CYCLE_1)
	s_cmp_lt_i32 s5, 0
	s_cbranch_scc1 .LBB10_11
; %bb.5:                                ;   in Loop: Header=BB10_4 Depth=1
	s_lshr_b32 s8, s5, 1
	s_mov_b32 s10, 0
	v_add_nc_u32_e32 v1, s8, v0
	s_delay_alu instid0(VALU_DEP_1) | instskip(NEXT) | instid1(VALU_DEP_1)
	v_lshlrev_b64 v[5:6], 2, v[1:2]
	v_add_co_u32 v5, vcc_lo, s3, v5
	s_delay_alu instid0(VALU_DEP_2) | instskip(SKIP_4) | instid1(VALU_DEP_2)
	v_add_co_ci_u32_e32 v6, vcc_lo, s4, v6, vcc_lo
	global_load_b32 v5, v[5:6], off
	s_waitcnt vmcnt(0)
	v_lshrrev_b32_e32 v6, 16, v5
	v_cmp_class_f16_e64 s8, v5, 0x204
	v_and_b32_e32 v6, 0x7fff, v6
	s_delay_alu instid0(VALU_DEP_1) | instskip(NEXT) | instid1(VALU_DEP_3)
	v_cmp_eq_f16_e32 vcc_lo, 0x7c00, v6
	s_and_b32 s11, s8, vcc_lo
	s_delay_alu instid0(SALU_CYCLE_1)
	s_and_saveexec_b32 s8, s11
	s_cbranch_execz .LBB10_9
; %bb.6:                                ;   in Loop: Header=BB10_4 Depth=1
	v_add_nc_u32_e32 v5, s9, v1
	s_delay_alu instid0(VALU_DEP_1) | instskip(NEXT) | instid1(VALU_DEP_1)
	v_ashrrev_i32_e32 v6, 31, v5
	v_lshlrev_b64 v[5:6], 2, v[5:6]
	s_delay_alu instid0(VALU_DEP_1) | instskip(NEXT) | instid1(VALU_DEP_2)
	v_add_co_u32 v5, vcc_lo, s3, v5
	v_add_co_ci_u32_e32 v6, vcc_lo, s4, v6, vcc_lo
	global_load_b32 v1, v[5:6], off
	s_waitcnt vmcnt(0)
	v_cmp_class_f16_e64 s12, v1, 0x204
	s_delay_alu instid0(VALU_DEP_1)
	s_and_saveexec_b32 s11, s12
; %bb.7:                                ;   in Loop: Header=BB10_4 Depth=1
	v_lshrrev_b32_e32 v1, 16, v1
	s_delay_alu instid0(VALU_DEP_1) | instskip(NEXT) | instid1(VALU_DEP_1)
	v_cmp_class_f16_e64 s10, v1, 0x204
	s_and_b32 s10, s10, exec_lo
; %bb.8:                                ;   in Loop: Header=BB10_4 Depth=1
	s_or_b32 exec_lo, exec_lo, s11
	s_delay_alu instid0(SALU_CYCLE_1)
	s_and_b32 s10, s10, exec_lo
.LBB10_9:                               ;   in Loop: Header=BB10_4 Depth=1
	s_or_b32 exec_lo, exec_lo, s8
	v_cndmask_b32_e64 v1, 0, 1, s10
	;;#ASMSTART
	;;#ASMEND
	s_delay_alu instid0(VALU_DEP_1)
	v_cmp_ne_u32_e32 vcc_lo, 0, v1
	s_mov_b32 s8, exec_lo
	s_and_saveexec_b32 s10, s0
	s_cbranch_execz .LBB10_3
; %bb.10:                               ;   in Loop: Header=BB10_4 Depth=1
	s_cmp_eq_u32 vcc_lo, s8
	s_cselect_b32 s8, -1, 0
	s_delay_alu instid0(SALU_CYCLE_1)
	v_cndmask_b32_e64 v1, 0, 1, s8
	ds_store_b32 v3, v1
	s_branch .LBB10_3
.LBB10_11:                              ;   in Loop: Header=BB10_4 Depth=1
                                        ; implicit-def: $sgpr5
	s_cbranch_execz .LBB10_4
.LBB10_12:
	s_mov_b32 s0, exec_lo
	v_cmpx_eq_u32_e32 0, v0
	s_cbranch_execz .LBB10_14
; %bb.13:
	s_mul_i32 s0, s1, s15
	v_dual_mov_b32 v0, 0 :: v_dual_mov_b32 v1, s2
	s_add_i32 s0, s0, s14
	s_delay_alu instid0(SALU_CYCLE_1) | instskip(NEXT) | instid1(SALU_CYCLE_1)
	s_ashr_i32 s1, s0, 31
	s_lshl_b64 s[0:1], s[0:1], 2
	s_delay_alu instid0(SALU_CYCLE_1)
	s_add_u32 s0, s6, s0
	s_addc_u32 s1, s7, s1
	global_store_b32 v0, v1, s[0:1]
.LBB10_14:
	s_nop 0
	s_sendmsg sendmsg(MSG_DEALLOC_VGPRS)
	s_endpgm
	.section	.rodata,"a",@progbits
	.p2align	6, 0x0
	.amdhsa_kernel _ZL25flash_attn_mask_to_KV_maxILi2EEvPK7__half2Piiii
		.amdhsa_group_segment_fixed_size 128
		.amdhsa_private_segment_fixed_size 0
		.amdhsa_kernarg_size 288
		.amdhsa_user_sgpr_count 14
		.amdhsa_user_sgpr_dispatch_ptr 0
		.amdhsa_user_sgpr_queue_ptr 0
		.amdhsa_user_sgpr_kernarg_segment_ptr 1
		.amdhsa_user_sgpr_dispatch_id 0
		.amdhsa_user_sgpr_private_segment_size 0
		.amdhsa_wavefront_size32 1
		.amdhsa_uses_dynamic_stack 0
		.amdhsa_enable_private_segment 0
		.amdhsa_system_sgpr_workgroup_id_x 1
		.amdhsa_system_sgpr_workgroup_id_y 1
		.amdhsa_system_sgpr_workgroup_id_z 0
		.amdhsa_system_sgpr_workgroup_info 0
		.amdhsa_system_vgpr_workitem_id 0
		.amdhsa_next_free_vgpr 7
		.amdhsa_next_free_sgpr 16
		.amdhsa_reserve_vcc 1
		.amdhsa_float_round_mode_32 0
		.amdhsa_float_round_mode_16_64 0
		.amdhsa_float_denorm_mode_32 3
		.amdhsa_float_denorm_mode_16_64 3
		.amdhsa_dx10_clamp 1
		.amdhsa_ieee_mode 1
		.amdhsa_fp16_overflow 0
		.amdhsa_workgroup_processor_mode 1
		.amdhsa_memory_ordered 1
		.amdhsa_forward_progress 0
		.amdhsa_shared_vgpr_count 0
		.amdhsa_exception_fp_ieee_invalid_op 0
		.amdhsa_exception_fp_denorm_src 0
		.amdhsa_exception_fp_ieee_div_zero 0
		.amdhsa_exception_fp_ieee_overflow 0
		.amdhsa_exception_fp_ieee_underflow 0
		.amdhsa_exception_fp_ieee_inexact 0
		.amdhsa_exception_int_div_zero 0
	.end_amdhsa_kernel
	.section	.text._ZL25flash_attn_mask_to_KV_maxILi2EEvPK7__half2Piiii,"axG",@progbits,_ZL25flash_attn_mask_to_KV_maxILi2EEvPK7__half2Piiii,comdat
.Lfunc_end10:
	.size	_ZL25flash_attn_mask_to_KV_maxILi2EEvPK7__half2Piiii, .Lfunc_end10-_ZL25flash_attn_mask_to_KV_maxILi2EEvPK7__half2Piiii
                                        ; -- End function
	.section	.AMDGPU.csdata,"",@progbits
; Kernel info:
; codeLenInByte = 584
; NumSgprs: 18
; NumVgprs: 7
; ScratchSize: 0
; MemoryBound: 0
; FloatMode: 240
; IeeeMode: 1
; LDSByteSize: 128 bytes/workgroup (compile time only)
; SGPRBlocks: 2
; VGPRBlocks: 0
; NumSGPRsForWavesPerEU: 18
; NumVGPRsForWavesPerEU: 7
; Occupancy: 16
; WaveLimiterHint : 0
; COMPUTE_PGM_RSRC2:SCRATCH_EN: 0
; COMPUTE_PGM_RSRC2:USER_SGPR: 14
; COMPUTE_PGM_RSRC2:TRAP_HANDLER: 0
; COMPUTE_PGM_RSRC2:TGID_X_EN: 1
; COMPUTE_PGM_RSRC2:TGID_Y_EN: 1
; COMPUTE_PGM_RSRC2:TGID_Z_EN: 0
; COMPUTE_PGM_RSRC2:TIDIG_COMP_CNT: 0
	.section	.text._ZL33flash_attn_stream_k_fixup_uniformILi64ELi2ELi1EEvPfPK15HIP_vector_typeIfLj2EEiiiiiiS1_IjLj3EES5_S5_,"axG",@progbits,_ZL33flash_attn_stream_k_fixup_uniformILi64ELi2ELi1EEvPfPK15HIP_vector_typeIfLj2EEiiiiiiS1_IjLj3EES5_S5_,comdat
	.globl	_ZL33flash_attn_stream_k_fixup_uniformILi64ELi2ELi1EEvPfPK15HIP_vector_typeIfLj2EEiiiiiiS1_IjLj3EES5_S5_ ; -- Begin function _ZL33flash_attn_stream_k_fixup_uniformILi64ELi2ELi1EEvPfPK15HIP_vector_typeIfLj2EEiiiiiiS1_IjLj3EES5_S5_
	.p2align	8
	.type	_ZL33flash_attn_stream_k_fixup_uniformILi64ELi2ELi1EEvPfPK15HIP_vector_typeIfLj2EEiiiiiiS1_IjLj3EES5_S5_,@function
_ZL33flash_attn_stream_k_fixup_uniformILi64ELi2ELi1EEvPfPK15HIP_vector_typeIfLj2EEiiiiiiS1_IjLj3EES5_S5_: ; @_ZL33flash_attn_stream_k_fixup_uniformILi64ELi2ELi1EEvPfPK15HIP_vector_typeIfLj2EEiiiiiiS1_IjLj3EES5_S5_
; %bb.0:
	s_clause 0x1
	s_load_b256 s[4:11], s[0:1], 0x1c
	s_load_b128 s[16:19], s[0:1], 0x3c
	s_waitcnt lgkmcnt(0)
	s_mul_hi_u32 s2, s7, s13
	s_delay_alu instid0(SALU_CYCLE_1) | instskip(NEXT) | instid1(SALU_CYCLE_1)
	s_add_i32 s2, s13, s2
	s_lshr_b32 s2, s2, s8
	s_delay_alu instid0(SALU_CYCLE_1) | instskip(SKIP_2) | instid1(SALU_CYCLE_1)
	s_mul_i32 s3, s2, s9
	s_load_b64 s[8:9], s[0:1], 0x10
	s_sub_i32 s7, s13, s3
	s_mul_hi_u32 s3, s7, s10
	s_delay_alu instid0(SALU_CYCLE_1) | instskip(NEXT) | instid1(SALU_CYCLE_1)
	s_add_i32 s3, s7, s3
	s_lshr_b32 s3, s3, s11
	s_delay_alu instid0(SALU_CYCLE_1) | instskip(NEXT) | instid1(SALU_CYCLE_1)
	s_mul_i32 s10, s3, s16
	s_sub_i32 s10, s7, s10
	s_delay_alu instid0(SALU_CYCLE_1) | instskip(NEXT) | instid1(SALU_CYCLE_1)
	s_mul_hi_u32 s7, s10, s17
	s_add_i32 s7, s10, s7
	s_delay_alu instid0(SALU_CYCLE_1) | instskip(NEXT) | instid1(SALU_CYCLE_1)
	s_lshr_b32 s7, s7, s18
	s_mul_i32 s11, s7, s19
	s_delay_alu instid0(SALU_CYCLE_1) | instskip(NEXT) | instid1(SALU_CYCLE_1)
	s_sub_i32 s10, s10, s11
	s_lshl_b32 s11, s10, 1
	s_delay_alu instid0(SALU_CYCLE_1) | instskip(SKIP_4) | instid1(SALU_CYCLE_1)
	s_add_i32 s11, s11, s14
	s_waitcnt lgkmcnt(0)
	s_cmp_lt_i32 s11, s8
	s_cselect_b32 s11, -1, 0
	s_add_i32 s12, s7, s15
	s_cmp_lt_i32 s12, s5
	s_cselect_b32 s12, -1, 0
	s_delay_alu instid0(SALU_CYCLE_1) | instskip(NEXT) | instid1(SALU_CYCLE_1)
	s_and_b32 s11, s11, s12
	s_and_not1_b32 vcc_lo, exec_lo, s11
	s_cbranch_vccnz .LBB11_6
; %bb.1:
	s_mul_i32 s2, s2, s8
	s_mul_i32 s5, s3, s5
	s_add_i32 s2, s2, s14
	s_delay_alu instid0(SALU_CYCLE_1) | instskip(NEXT) | instid1(SALU_CYCLE_1)
	s_mul_i32 s2, s2, s9
	s_add_i32 s8, s2, s15
	s_load_b128 s[0:3], s[0:1], 0x0
	s_add_i32 s5, s8, s5
	s_mul_i32 s8, s9, s10
	s_add_i32 s5, s5, s7
	s_lshl_b32 s7, s8, 7
	s_lshl_b32 s5, s5, 6
	s_add_i32 s10, s14, s15
	s_add_i32 s7, s7, s5
	s_mul_i32 s5, s13, s6
	v_or_b32_e32 v1, s7, v0
	s_add_i32 s9, s5, s6
	s_delay_alu instid0(VALU_DEP_1) | instskip(NEXT) | instid1(VALU_DEP_1)
	v_ashrrev_i32_e32 v2, 31, v1
	v_lshlrev_b64 v[1:2], 2, v[1:2]
	s_waitcnt lgkmcnt(0)
	s_delay_alu instid0(VALU_DEP_1) | instskip(NEXT) | instid1(VALU_DEP_2)
	v_add_co_u32 v1, vcc_lo, s0, v1
	v_add_co_ci_u32_e32 v2, vcc_lo, s1, v2, vcc_lo
	s_lshl_b32 s0, s9, 1
	s_delay_alu instid0(SALU_CYCLE_1) | instskip(SKIP_2) | instid1(SALU_CYCLE_1)
	s_add_i32 s0, s10, s0
	global_load_b32 v5, v[1:2], off
	s_add_i32 s0, s0, -2
	s_ashr_i32 s1, s0, 31
	s_delay_alu instid0(SALU_CYCLE_1) | instskip(NEXT) | instid1(SALU_CYCLE_1)
	s_lshl_b64 s[0:1], s[0:1], 3
	s_add_u32 s0, s2, s0
	s_addc_u32 s1, s3, s1
	s_add_i32 s7, s9, -2
	s_load_b32 s11, s[0:1], 0x4
	s_cmp_lt_i32 s7, s5
	s_cbranch_scc1 .LBB11_4
; %bb.2:
	s_lshl_b32 s14, s4, 3
	s_load_b32 s12, s[0:1], 0x0
	s_ashr_i32 s15, s14, 31
	s_delay_alu instid0(SALU_CYCLE_1) | instskip(NEXT) | instid1(SALU_CYCLE_1)
	s_lshl_b64 s[0:1], s[14:15], 2
	s_add_u32 s7, s2, s0
	s_addc_u32 s8, s3, s1
	s_add_i32 s13, s13, 1
	s_lshl_b32 s1, s10, 6
	s_mul_i32 s0, s6, s13
	s_delay_alu instid0(SALU_CYCLE_1)
	s_lshl_b32 s6, s0, 7
	s_lshl_b32 s0, s0, 1
	s_add_i32 s1, s1, s6
	s_add_i32 s0, s10, s0
	v_or_b32_e32 v0, s1, v0
	s_lshl_b32 s1, s4, 1
	s_waitcnt lgkmcnt(0)
	v_mov_b32_e32 v6, s11
	s_add_i32 s0, s0, s1
	s_add_i32 s4, s9, -1
	v_dual_mov_b32 v0, s12 :: v_dual_add_nc_u32 v3, 0xffffff00, v0
	s_add_i32 s0, s0, -4
.LBB11_3:                               ; =>This Inner Loop Header: Depth=1
	s_delay_alu instid0(VALU_DEP_1) | instskip(SKIP_1) | instid1(SALU_CYCLE_1)
	v_ashrrev_i32_e32 v4, 31, v3
	s_ashr_i32 s1, s0, 31
	s_lshl_b64 s[10:11], s[0:1], 3
	s_delay_alu instid0(SALU_CYCLE_1) | instskip(NEXT) | instid1(VALU_DEP_1)
	s_add_u32 s10, s2, s10
	v_lshlrev_b64 v[7:8], 2, v[3:4]
	s_addc_u32 s11, s3, s11
	s_add_i32 s4, s4, -1
	s_add_i32 s0, s0, -2
	s_cmp_le_i32 s4, s5
	s_load_b64 s[10:11], s[10:11], 0x0
	v_add_co_u32 v7, vcc_lo, s7, v7
	v_add_co_ci_u32_e32 v8, vcc_lo, s8, v8, vcc_lo
	global_load_b32 v4, v[7:8], off
	v_max_f32_e32 v7, v0, v0
	s_waitcnt lgkmcnt(0)
	v_max_f32_e64 v8, s10, s10
	s_delay_alu instid0(VALU_DEP_1) | instskip(NEXT) | instid1(VALU_DEP_1)
	v_max_f32_e32 v7, v7, v8
	v_sub_f32_e32 v8, s10, v7
	s_delay_alu instid0(VALU_DEP_1) | instskip(NEXT) | instid1(VALU_DEP_1)
	v_dual_sub_f32 v0, v0, v7 :: v_dual_mul_f32 v9, 0x3fb8aa3b, v8
	v_fma_f32 v10, 0x3fb8aa3b, v8, -v9
	v_rndne_f32_e32 v11, v9
	s_delay_alu instid0(VALU_DEP_3) | instskip(NEXT) | instid1(VALU_DEP_2)
	v_mul_f32_e32 v12, 0x3fb8aa3b, v0
	v_dual_fmac_f32 v10, 0x32a5705f, v8 :: v_dual_sub_f32 v9, v9, v11
	v_cvt_i32_f32_e32 v11, v11
	s_delay_alu instid0(VALU_DEP_3) | instskip(SKIP_1) | instid1(VALU_DEP_4)
	v_fma_f32 v13, 0x3fb8aa3b, v0, -v12
	v_rndne_f32_e32 v14, v12
	v_add_f32_e32 v9, v9, v10
	v_cmp_ngt_f32_e32 vcc_lo, 0xc2ce8ed0, v8
	s_delay_alu instid0(VALU_DEP_3) | instskip(NEXT) | instid1(VALU_DEP_3)
	v_sub_f32_e32 v10, v12, v14
	v_exp_f32_e32 v9, v9
	s_waitcnt_depctr 0xfff
	v_ldexp_f32 v9, v9, v11
	v_cvt_i32_f32_e32 v11, v14
	s_delay_alu instid0(VALU_DEP_2) | instskip(SKIP_1) | instid1(VALU_DEP_2)
	v_cndmask_b32_e32 v9, 0, v9, vcc_lo
	v_cmp_nlt_f32_e32 vcc_lo, 0x42b17218, v8
	v_cndmask_b32_e32 v9, 0x7f800000, v9, vcc_lo
	v_cmp_ngt_f32_e32 vcc_lo, 0xc2ce8ed0, v0
	v_fmac_f32_e32 v13, 0x32a5705f, v0
	s_delay_alu instid0(VALU_DEP_1) | instskip(NEXT) | instid1(VALU_DEP_1)
	v_add_f32_e32 v10, v10, v13
	v_exp_f32_e32 v10, v10
	s_waitcnt_depctr 0xfff
	v_ldexp_f32 v10, v10, v11
	s_delay_alu instid0(VALU_DEP_1)
	v_dual_mov_b32 v11, v6 :: v_dual_cndmask_b32 v10, 0, v10
	v_cmp_le_f32_e32 vcc_lo, 0xc1a00000, v8
	s_waitcnt vmcnt(1)
	v_dual_cndmask_b32 v8, 0, v9 :: v_dual_mov_b32 v9, v5
	v_cmp_nlt_f32_e32 vcc_lo, 0x42b17218, v0
	v_cndmask_b32_e32 v5, 0x7f800000, v10, vcc_lo
	s_delay_alu instid0(VALU_DEP_3) | instskip(SKIP_2) | instid1(VALU_DEP_3)
	v_mul_f32_e32 v10, s11, v8
	v_cmp_le_f32_e32 vcc_lo, 0xc1a00000, v0
	v_mov_b32_e32 v0, v7
	v_mov_b32_e32 v6, v10
	s_waitcnt vmcnt(0)
	v_dual_cndmask_b32 v12, 0, v5 :: v_dual_mul_f32 v5, v4, v8
	s_delay_alu instid0(VALU_DEP_1) | instskip(NEXT) | instid1(VALU_DEP_2)
	v_dual_fmac_f32 v6, v11, v12 :: v_dual_add_nc_u32 v3, 0xffffff80, v3
	v_fmac_f32_e32 v5, v9, v12
	s_cbranch_scc0 .LBB11_3
	s_branch .LBB11_5
.LBB11_4:
	s_waitcnt lgkmcnt(0)
	v_mov_b32_e32 v6, s11
.LBB11_5:
	s_waitcnt vmcnt(0)
	s_delay_alu instid0(VALU_DEP_1) | instskip(NEXT) | instid1(VALU_DEP_1)
	v_div_scale_f32 v0, null, v6, v6, v5
	v_rcp_f32_e32 v3, v0
	s_waitcnt_depctr 0xfff
	v_fma_f32 v4, -v0, v3, 1.0
	s_delay_alu instid0(VALU_DEP_1) | instskip(SKIP_1) | instid1(VALU_DEP_1)
	v_fmac_f32_e32 v3, v4, v3
	v_div_scale_f32 v4, vcc_lo, v5, v6, v5
	v_mul_f32_e32 v7, v4, v3
	s_delay_alu instid0(VALU_DEP_1) | instskip(NEXT) | instid1(VALU_DEP_1)
	v_fma_f32 v8, -v0, v7, v4
	v_fmac_f32_e32 v7, v8, v3
	s_delay_alu instid0(VALU_DEP_1) | instskip(NEXT) | instid1(VALU_DEP_1)
	v_fma_f32 v0, -v0, v7, v4
	v_div_fmas_f32 v0, v0, v3, v7
	s_delay_alu instid0(VALU_DEP_1)
	v_div_fixup_f32 v0, v0, v6, v5
	global_store_b32 v[1:2], v0, off
.LBB11_6:
	s_nop 0
	s_sendmsg sendmsg(MSG_DEALLOC_VGPRS)
	s_endpgm
	.section	.rodata,"a",@progbits
	.p2align	6, 0x0
	.amdhsa_kernel _ZL33flash_attn_stream_k_fixup_uniformILi64ELi2ELi1EEvPfPK15HIP_vector_typeIfLj2EEiiiiiiS1_IjLj3EES5_S5_
		.amdhsa_group_segment_fixed_size 0
		.amdhsa_private_segment_fixed_size 0
		.amdhsa_kernarg_size 76
		.amdhsa_user_sgpr_count 13
		.amdhsa_user_sgpr_dispatch_ptr 0
		.amdhsa_user_sgpr_queue_ptr 0
		.amdhsa_user_sgpr_kernarg_segment_ptr 1
		.amdhsa_user_sgpr_dispatch_id 0
		.amdhsa_user_sgpr_private_segment_size 0
		.amdhsa_wavefront_size32 1
		.amdhsa_uses_dynamic_stack 0
		.amdhsa_enable_private_segment 0
		.amdhsa_system_sgpr_workgroup_id_x 1
		.amdhsa_system_sgpr_workgroup_id_y 1
		.amdhsa_system_sgpr_workgroup_id_z 1
		.amdhsa_system_sgpr_workgroup_info 0
		.amdhsa_system_vgpr_workitem_id 0
		.amdhsa_next_free_vgpr 15
		.amdhsa_next_free_sgpr 20
		.amdhsa_reserve_vcc 1
		.amdhsa_float_round_mode_32 0
		.amdhsa_float_round_mode_16_64 0
		.amdhsa_float_denorm_mode_32 3
		.amdhsa_float_denorm_mode_16_64 3
		.amdhsa_dx10_clamp 1
		.amdhsa_ieee_mode 1
		.amdhsa_fp16_overflow 0
		.amdhsa_workgroup_processor_mode 1
		.amdhsa_memory_ordered 1
		.amdhsa_forward_progress 0
		.amdhsa_shared_vgpr_count 0
		.amdhsa_exception_fp_ieee_invalid_op 0
		.amdhsa_exception_fp_denorm_src 0
		.amdhsa_exception_fp_ieee_div_zero 0
		.amdhsa_exception_fp_ieee_overflow 0
		.amdhsa_exception_fp_ieee_underflow 0
		.amdhsa_exception_fp_ieee_inexact 0
		.amdhsa_exception_int_div_zero 0
	.end_amdhsa_kernel
	.section	.text._ZL33flash_attn_stream_k_fixup_uniformILi64ELi2ELi1EEvPfPK15HIP_vector_typeIfLj2EEiiiiiiS1_IjLj3EES5_S5_,"axG",@progbits,_ZL33flash_attn_stream_k_fixup_uniformILi64ELi2ELi1EEvPfPK15HIP_vector_typeIfLj2EEiiiiiiS1_IjLj3EES5_S5_,comdat
.Lfunc_end11:
	.size	_ZL33flash_attn_stream_k_fixup_uniformILi64ELi2ELi1EEvPfPK15HIP_vector_typeIfLj2EEiiiiiiS1_IjLj3EES5_S5_, .Lfunc_end11-_ZL33flash_attn_stream_k_fixup_uniformILi64ELi2ELi1EEvPfPK15HIP_vector_typeIfLj2EEiiiiiiS1_IjLj3EES5_S5_
                                        ; -- End function
	.section	.AMDGPU.csdata,"",@progbits
; Kernel info:
; codeLenInByte = 976
; NumSgprs: 22
; NumVgprs: 15
; ScratchSize: 0
; MemoryBound: 0
; FloatMode: 240
; IeeeMode: 1
; LDSByteSize: 0 bytes/workgroup (compile time only)
; SGPRBlocks: 2
; VGPRBlocks: 1
; NumSGPRsForWavesPerEU: 22
; NumVGPRsForWavesPerEU: 15
; Occupancy: 16
; WaveLimiterHint : 0
; COMPUTE_PGM_RSRC2:SCRATCH_EN: 0
; COMPUTE_PGM_RSRC2:USER_SGPR: 13
; COMPUTE_PGM_RSRC2:TRAP_HANDLER: 0
; COMPUTE_PGM_RSRC2:TGID_X_EN: 1
; COMPUTE_PGM_RSRC2:TGID_Y_EN: 1
; COMPUTE_PGM_RSRC2:TGID_Z_EN: 1
; COMPUTE_PGM_RSRC2:TIDIG_COMP_CNT: 0
	.section	.text._ZL33flash_attn_stream_k_fixup_generalILi64ELi2ELi1EEvPfPK15HIP_vector_typeIfLj2EEiiiiS1_IjLj3EES5_S5_S5_,"axG",@progbits,_ZL33flash_attn_stream_k_fixup_generalILi64ELi2ELi1EEvPfPK15HIP_vector_typeIfLj2EEiiiiS1_IjLj3EES5_S5_S5_,comdat
	.globl	_ZL33flash_attn_stream_k_fixup_generalILi64ELi2ELi1EEvPfPK15HIP_vector_typeIfLj2EEiiiiS1_IjLj3EES5_S5_S5_ ; -- Begin function _ZL33flash_attn_stream_k_fixup_generalILi64ELi2ELi1EEvPfPK15HIP_vector_typeIfLj2EEiiiiS1_IjLj3EES5_S5_S5_
	.p2align	8
	.type	_ZL33flash_attn_stream_k_fixup_generalILi64ELi2ELi1EEvPfPK15HIP_vector_typeIfLj2EEiiiiS1_IjLj3EES5_S5_S5_,@function
_ZL33flash_attn_stream_k_fixup_generalILi64ELi2ELi1EEvPfPK15HIP_vector_typeIfLj2EEiiiiS1_IjLj3EES5_S5_S5_: ; @_ZL33flash_attn_stream_k_fixup_generalILi64ELi2ELi1EEvPfPK15HIP_vector_typeIfLj2EEiiiiS1_IjLj3EES5_S5_S5_
; %bb.0:
	s_clause 0x1
	s_load_b128 s[4:7], s[0:1], 0x10
	s_load_b32 s20, s[0:1], 0x50
	s_mov_b32 s2, 0
	s_waitcnt lgkmcnt(0)
	s_mul_hi_i32 s3, s7, s13
	s_mul_i32 s12, s7, s13
	s_cmp_lg_u64 s[2:3], 0
	s_cbranch_scc0 .LBB12_21
; %bb.1:
	v_cvt_f32_ubyte0_e32 v1, 0
	v_cvt_f32_u32_e32 v2, s20
	s_sub_u32 s10, 0, s20
	s_subb_u32 s11, 0, 0
	s_delay_alu instid0(VALU_DEP_1) | instskip(NEXT) | instid1(VALU_DEP_1)
	v_fmamk_f32 v1, v1, 0x4f800000, v2
	v_rcp_f32_e32 v1, v1
	s_waitcnt_depctr 0xfff
	v_mul_f32_e32 v1, 0x5f7ffffc, v1
	s_delay_alu instid0(VALU_DEP_1) | instskip(NEXT) | instid1(VALU_DEP_1)
	v_mul_f32_e32 v2, 0x2f800000, v1
	v_trunc_f32_e32 v2, v2
	s_delay_alu instid0(VALU_DEP_1) | instskip(SKIP_1) | instid1(VALU_DEP_2)
	v_fmamk_f32 v1, v2, 0xcf800000, v1
	v_cvt_u32_f32_e32 v2, v2
	v_cvt_u32_f32_e32 v1, v1
	s_delay_alu instid0(VALU_DEP_2) | instskip(NEXT) | instid1(VALU_DEP_2)
	v_readfirstlane_b32 s8, v2
	v_readfirstlane_b32 s9, v1
	s_delay_alu instid0(VALU_DEP_2) | instskip(NEXT) | instid1(VALU_DEP_1)
	s_mul_i32 s16, s10, s8
	s_mul_hi_u32 s18, s10, s9
	s_mul_i32 s17, s11, s9
	s_add_i32 s16, s18, s16
	s_mul_i32 s19, s10, s9
	s_add_i32 s16, s16, s17
	s_mul_hi_u32 s18, s9, s19
	s_mul_hi_u32 s21, s8, s19
	s_mul_i32 s17, s8, s19
	s_mul_hi_u32 s19, s9, s16
	s_mul_i32 s9, s9, s16
	s_mul_hi_u32 s22, s8, s16
	s_add_u32 s9, s18, s9
	s_addc_u32 s18, 0, s19
	s_add_u32 s9, s9, s17
	s_mul_i32 s16, s8, s16
	s_addc_u32 s9, s18, s21
	s_addc_u32 s17, s22, 0
	s_add_u32 s9, s9, s16
	s_addc_u32 s16, 0, s17
	v_add_co_u32 v1, s9, v1, s9
	s_delay_alu instid0(VALU_DEP_1) | instskip(SKIP_1) | instid1(VALU_DEP_1)
	s_cmp_lg_u32 s9, 0
	s_addc_u32 s8, s8, s16
	v_readfirstlane_b32 s9, v1
	s_mul_i32 s16, s10, s8
	s_delay_alu instid0(VALU_DEP_1)
	s_mul_hi_u32 s17, s10, s9
	s_mul_i32 s11, s11, s9
	s_add_i32 s16, s17, s16
	s_mul_i32 s10, s10, s9
	s_add_i32 s16, s16, s11
	s_mul_hi_u32 s17, s8, s10
	s_mul_i32 s18, s8, s10
	s_mul_hi_u32 s10, s9, s10
	s_mul_hi_u32 s19, s9, s16
	s_mul_i32 s9, s9, s16
	s_mul_hi_u32 s11, s8, s16
	s_add_u32 s9, s10, s9
	s_addc_u32 s10, 0, s19
	s_add_u32 s9, s9, s18
	s_mul_i32 s16, s8, s16
	s_addc_u32 s9, s10, s17
	s_addc_u32 s10, s11, 0
	s_add_u32 s9, s9, s16
	s_addc_u32 s10, 0, s10
	v_add_co_u32 v1, s9, v1, s9
	s_delay_alu instid0(VALU_DEP_1) | instskip(SKIP_2) | instid1(SALU_CYCLE_1)
	s_cmp_lg_u32 s9, 0
	s_addc_u32 s16, s8, s10
	s_ashr_i32 s8, s3, 31
	s_add_u32 s10, s12, s8
	s_addc_u32 s11, s3, s8
	v_readfirstlane_b32 s3, v1
	s_mov_b32 s9, s8
	s_delay_alu instid0(SALU_CYCLE_1) | instskip(NEXT) | instid1(SALU_CYCLE_1)
	s_xor_b64 s[10:11], s[10:11], s[8:9]
	s_mul_i32 s18, s10, s16
	s_delay_alu instid0(VALU_DEP_1)
	s_mul_hi_u32 s19, s10, s3
	s_mul_hi_u32 s17, s10, s16
	;; [unrolled: 1-line block ×3, first 2 shown]
	s_mul_i32 s3, s11, s3
	s_add_u32 s18, s19, s18
	s_addc_u32 s17, 0, s17
	s_mul_hi_u32 s21, s11, s16
	s_add_u32 s3, s18, s3
	s_mul_i32 s16, s11, s16
	s_addc_u32 s3, s17, s22
	s_addc_u32 s17, s21, 0
	s_add_u32 s3, s3, s16
	s_addc_u32 s16, 0, s17
	s_mul_i32 s18, s20, s3
	s_add_u32 s17, s3, 1
	v_sub_co_u32 v1, s10, s10, s18
	s_mul_hi_u32 s18, s20, s3
	s_addc_u32 s19, s16, 0
	s_mul_i32 s21, s20, s16
	s_delay_alu instid0(VALU_DEP_1)
	v_sub_co_u32 v2, s22, v1, s20
	s_add_u32 s23, s3, 2
	s_addc_u32 s24, s16, 0
	s_add_i32 s18, s18, s21
	s_cmp_lg_u32 s10, 0
	v_readfirstlane_b32 s10, v2
	s_subb_u32 s11, s11, s18
	s_cmp_lg_u32 s22, 0
	s_subb_u32 s18, s11, 0
	s_delay_alu instid0(VALU_DEP_1) | instskip(SKIP_4) | instid1(SALU_CYCLE_1)
	s_cmp_ge_u32 s10, s20
	s_cselect_b32 s10, -1, 0
	s_cmp_eq_u32 s18, 0
	v_readfirstlane_b32 s18, v1
	s_cselect_b32 s10, s10, -1
	s_cmp_lg_u32 s10, 0
	s_cselect_b32 s10, s23, s17
	s_cselect_b32 s17, s24, s19
	s_cmp_ge_u32 s18, s20
	s_cselect_b32 s18, -1, 0
	s_cmp_eq_u32 s11, 0
	s_cselect_b32 s11, s18, -1
	s_delay_alu instid0(SALU_CYCLE_1) | instskip(SKIP_2) | instid1(SALU_CYCLE_1)
	s_cmp_lg_u32 s11, 0
	s_cselect_b32 s11, s17, s16
	s_cselect_b32 s10, s10, s3
	s_xor_b64 s[10:11], s[10:11], s[8:9]
	s_delay_alu instid0(SALU_CYCLE_1)
	s_sub_u32 s16, s10, s8
	s_load_b128 s[8:11], s[0:1], 0x44
	s_and_not1_b32 vcc_lo, exec_lo, s2
	s_cbranch_vccnz .LBB12_3
.LBB12_2:
	v_cvt_f32_u32_e32 v1, s20
	s_sub_i32 s3, 0, s20
	s_delay_alu instid0(VALU_DEP_1) | instskip(SKIP_2) | instid1(VALU_DEP_1)
	v_rcp_iflag_f32_e32 v1, v1
	s_waitcnt_depctr 0xfff
	v_mul_f32_e32 v1, 0x4f7ffffe, v1
	v_cvt_u32_f32_e32 v1, v1
	s_delay_alu instid0(VALU_DEP_1) | instskip(NEXT) | instid1(VALU_DEP_1)
	v_readfirstlane_b32 s2, v1
	s_mul_i32 s3, s3, s2
	s_delay_alu instid0(SALU_CYCLE_1) | instskip(NEXT) | instid1(SALU_CYCLE_1)
	s_mul_hi_u32 s3, s2, s3
	s_add_i32 s2, s2, s3
	s_delay_alu instid0(SALU_CYCLE_1) | instskip(NEXT) | instid1(SALU_CYCLE_1)
	s_mul_hi_u32 s2, s12, s2
	s_mul_i32 s3, s2, s20
	s_waitcnt lgkmcnt(0)
	s_add_i32 s11, s2, 1
	s_sub_i32 s3, s12, s3
	s_delay_alu instid0(SALU_CYCLE_1)
	s_sub_i32 s12, s3, s20
	s_cmp_ge_u32 s3, s20
	s_cselect_b32 s2, s11, s2
	s_cselect_b32 s3, s12, s3
	s_add_i32 s11, s2, 1
	s_cmp_ge_u32 s3, s20
	s_cselect_b32 s16, s11, s2
.LBB12_3:
	s_waitcnt lgkmcnt(0)
	s_add_i32 s11, s13, 1
	s_mov_b32 s2, 0
	s_mul_hi_i32 s3, s7, s11
	s_mul_i32 s11, s7, s11
	s_cmp_lg_u64 s[2:3], 0
	s_cbranch_scc0 .LBB12_22
; %bb.4:
	v_cvt_f32_ubyte0_e32 v1, 0
	v_cvt_f32_u32_e32 v2, s20
	s_sub_u32 s18, 0, s20
	s_subb_u32 s19, 0, 0
	s_delay_alu instid0(VALU_DEP_1) | instskip(NEXT) | instid1(VALU_DEP_1)
	v_fmamk_f32 v1, v1, 0x4f800000, v2
	v_rcp_f32_e32 v1, v1
	s_waitcnt_depctr 0xfff
	v_mul_f32_e32 v1, 0x5f7ffffc, v1
	s_delay_alu instid0(VALU_DEP_1) | instskip(NEXT) | instid1(VALU_DEP_1)
	v_mul_f32_e32 v2, 0x2f800000, v1
	v_trunc_f32_e32 v2, v2
	s_delay_alu instid0(VALU_DEP_1) | instskip(SKIP_1) | instid1(VALU_DEP_2)
	v_fmamk_f32 v1, v2, 0xcf800000, v1
	v_cvt_u32_f32_e32 v2, v2
	v_cvt_u32_f32_e32 v1, v1
	s_delay_alu instid0(VALU_DEP_2) | instskip(NEXT) | instid1(VALU_DEP_2)
	v_readfirstlane_b32 s12, v2
	v_readfirstlane_b32 s17, v1
	s_delay_alu instid0(VALU_DEP_2) | instskip(NEXT) | instid1(VALU_DEP_1)
	s_mul_i32 s21, s18, s12
	s_mul_hi_u32 s23, s18, s17
	s_mul_i32 s22, s19, s17
	s_add_i32 s21, s23, s21
	s_mul_i32 s24, s18, s17
	s_add_i32 s21, s21, s22
	s_mul_hi_u32 s23, s17, s24
	s_mul_hi_u32 s25, s12, s24
	s_mul_i32 s22, s12, s24
	s_mul_hi_u32 s24, s17, s21
	s_mul_i32 s17, s17, s21
	s_mul_hi_u32 s26, s12, s21
	s_add_u32 s17, s23, s17
	s_addc_u32 s23, 0, s24
	s_add_u32 s17, s17, s22
	s_mul_i32 s21, s12, s21
	s_addc_u32 s17, s23, s25
	s_addc_u32 s22, s26, 0
	s_add_u32 s17, s17, s21
	s_addc_u32 s21, 0, s22
	v_add_co_u32 v1, s17, v1, s17
	s_delay_alu instid0(VALU_DEP_1) | instskip(SKIP_1) | instid1(VALU_DEP_1)
	s_cmp_lg_u32 s17, 0
	s_addc_u32 s12, s12, s21
	v_readfirstlane_b32 s17, v1
	s_mul_i32 s21, s18, s12
	s_delay_alu instid0(VALU_DEP_1)
	s_mul_hi_u32 s22, s18, s17
	s_mul_i32 s19, s19, s17
	s_add_i32 s21, s22, s21
	s_mul_i32 s18, s18, s17
	s_add_i32 s21, s21, s19
	s_mul_hi_u32 s22, s12, s18
	s_mul_i32 s23, s12, s18
	s_mul_hi_u32 s18, s17, s18
	s_mul_hi_u32 s24, s17, s21
	s_mul_i32 s17, s17, s21
	s_mul_hi_u32 s19, s12, s21
	s_add_u32 s17, s18, s17
	s_addc_u32 s18, 0, s24
	s_add_u32 s17, s17, s23
	s_mul_i32 s21, s12, s21
	s_addc_u32 s17, s18, s22
	s_addc_u32 s18, s19, 0
	s_add_u32 s17, s17, s21
	s_addc_u32 s18, 0, s18
	v_add_co_u32 v1, s17, v1, s17
	s_delay_alu instid0(VALU_DEP_1) | instskip(SKIP_2) | instid1(SALU_CYCLE_1)
	s_cmp_lg_u32 s17, 0
	s_addc_u32 s12, s12, s18
	s_ashr_i32 s18, s3, 31
	s_add_u32 s22, s11, s18
	s_addc_u32 s23, s3, s18
	v_readfirstlane_b32 s3, v1
	s_mov_b32 s19, s18
	s_delay_alu instid0(SALU_CYCLE_1) | instskip(NEXT) | instid1(SALU_CYCLE_1)
	s_xor_b64 s[22:23], s[22:23], s[18:19]
	s_mul_i32 s21, s22, s12
	s_delay_alu instid0(VALU_DEP_1)
	s_mul_hi_u32 s24, s22, s3
	s_mul_hi_u32 s17, s22, s12
	;; [unrolled: 1-line block ×3, first 2 shown]
	s_mul_i32 s3, s23, s3
	s_add_u32 s21, s24, s21
	s_addc_u32 s17, 0, s17
	s_mul_hi_u32 s25, s23, s12
	s_add_u32 s3, s21, s3
	s_mul_i32 s12, s23, s12
	s_addc_u32 s3, s17, s26
	s_addc_u32 s17, s25, 0
	s_add_u32 s3, s3, s12
	s_addc_u32 s12, 0, s17
	s_mul_i32 s21, s20, s3
	s_add_u32 s17, s3, 1
	v_sub_co_u32 v1, s21, s22, s21
	s_mul_hi_u32 s22, s20, s3
	s_addc_u32 s24, s12, 0
	s_mul_i32 s25, s20, s12
	s_delay_alu instid0(VALU_DEP_1)
	v_sub_co_u32 v2, s26, v1, s20
	s_add_u32 s27, s3, 2
	s_addc_u32 s28, s12, 0
	s_add_i32 s22, s22, s25
	s_cmp_lg_u32 s21, 0
	v_readfirstlane_b32 s21, v2
	s_subb_u32 s22, s23, s22
	s_cmp_lg_u32 s26, 0
	s_subb_u32 s23, s22, 0
	s_delay_alu instid0(VALU_DEP_1) | instskip(SKIP_4) | instid1(SALU_CYCLE_1)
	s_cmp_ge_u32 s21, s20
	s_cselect_b32 s21, -1, 0
	s_cmp_eq_u32 s23, 0
	v_readfirstlane_b32 s23, v1
	s_cselect_b32 s21, s21, -1
	s_cmp_lg_u32 s21, 0
	s_cselect_b32 s17, s27, s17
	s_cselect_b32 s21, s28, s24
	s_cmp_ge_u32 s23, s20
	s_cselect_b32 s23, -1, 0
	s_cmp_eq_u32 s22, 0
	s_cselect_b32 s22, s23, -1
	s_delay_alu instid0(SALU_CYCLE_1) | instskip(SKIP_2) | instid1(SALU_CYCLE_1)
	s_cmp_lg_u32 s22, 0
	s_cselect_b32 s23, s21, s12
	s_cselect_b32 s22, s17, s3
	s_xor_b64 s[22:23], s[22:23], s[18:19]
	s_delay_alu instid0(SALU_CYCLE_1)
	s_sub_u32 s18, s22, s18
	s_and_not1_b32 vcc_lo, exec_lo, s2
	s_cbranch_vccnz .LBB12_6
.LBB12_5:
	v_cvt_f32_u32_e32 v1, s20
	s_sub_i32 s3, 0, s20
	s_delay_alu instid0(VALU_DEP_1) | instskip(SKIP_2) | instid1(VALU_DEP_1)
	v_rcp_iflag_f32_e32 v1, v1
	s_waitcnt_depctr 0xfff
	v_mul_f32_e32 v1, 0x4f7ffffe, v1
	v_cvt_u32_f32_e32 v1, v1
	s_delay_alu instid0(VALU_DEP_1) | instskip(NEXT) | instid1(VALU_DEP_1)
	v_readfirstlane_b32 s2, v1
	s_mul_i32 s3, s3, s2
	s_delay_alu instid0(SALU_CYCLE_1) | instskip(NEXT) | instid1(SALU_CYCLE_1)
	s_mul_hi_u32 s3, s2, s3
	s_add_i32 s2, s2, s3
	s_delay_alu instid0(SALU_CYCLE_1) | instskip(NEXT) | instid1(SALU_CYCLE_1)
	s_mul_hi_u32 s2, s11, s2
	s_mul_i32 s3, s2, s20
	s_delay_alu instid0(SALU_CYCLE_1)
	s_sub_i32 s3, s11, s3
	s_add_i32 s11, s2, 1
	s_sub_i32 s12, s3, s20
	s_cmp_ge_u32 s3, s20
	s_cselect_b32 s2, s11, s2
	s_cselect_b32 s3, s12, s3
	s_add_i32 s11, s2, 1
	s_cmp_ge_u32 s3, s20
	s_cselect_b32 s18, s11, s2
.LBB12_6:
	s_delay_alu instid0(SALU_CYCLE_1) | instskip(SKIP_3) | instid1(SALU_CYCLE_1)
	s_cmp_eq_u32 s16, s18
	s_mul_hi_u32 s2, s16, s8
	s_cselect_b32 s3, -1, 0
	s_add_i32 s2, s2, s16
	s_lshr_b32 s11, s2, s9
	s_delay_alu instid0(SALU_CYCLE_1) | instskip(NEXT) | instid1(SALU_CYCLE_1)
	s_mul_i32 s2, s11, s10
	s_cmp_eq_u32 s2, s16
	s_mul_hi_u32 s2, s18, s8
	s_cselect_b32 s12, -1, 0
	s_add_i32 s2, s2, s18
	s_delay_alu instid0(SALU_CYCLE_1) | instskip(NEXT) | instid1(SALU_CYCLE_1)
	s_lshr_b32 s2, s2, s9
	s_cmp_eq_u32 s11, s2
	s_mul_i32 s2, s2, s10
	s_cselect_b32 s17, -1, 0
	s_cmp_lg_u32 s2, s18
	s_cselect_b32 s2, -1, 0
	s_or_b32 s3, s3, s12
	s_and_b32 s2, s17, s2
	s_delay_alu instid0(SALU_CYCLE_1) | instskip(NEXT) | instid1(SALU_CYCLE_1)
	s_or_b32 s2, s3, s2
	s_and_b32 vcc_lo, exec_lo, s2
	s_cbranch_vccnz .LBB12_24
; %bb.7:
	s_load_b256 s[24:31], s[0:1], 0x20
	s_waitcnt lgkmcnt(0)
	s_mul_hi_u32 s2, s16, s24
	s_delay_alu instid0(SALU_CYCLE_1) | instskip(NEXT) | instid1(SALU_CYCLE_1)
	s_add_i32 s2, s2, s16
	s_lshr_b32 s18, s2, s25
	s_load_b32 s2, s[0:1], 0x40
	s_mul_i32 s3, s18, s26
	s_delay_alu instid0(SALU_CYCLE_1) | instskip(NEXT) | instid1(SALU_CYCLE_1)
	s_sub_i32 s3, s16, s3
	s_mul_hi_u32 s12, s3, s27
	s_delay_alu instid0(SALU_CYCLE_1) | instskip(NEXT) | instid1(SALU_CYCLE_1)
	s_add_i32 s12, s3, s12
	s_lshr_b32 s21, s12, s28
	s_delay_alu instid0(SALU_CYCLE_1) | instskip(NEXT) | instid1(SALU_CYCLE_1)
	s_mul_i32 s12, s21, s29
	s_sub_i32 s3, s3, s12
	s_delay_alu instid0(SALU_CYCLE_1) | instskip(NEXT) | instid1(SALU_CYCLE_1)
	s_mul_hi_u32 s12, s3, s30
	s_add_i32 s12, s3, s12
	s_delay_alu instid0(SALU_CYCLE_1) | instskip(SKIP_3) | instid1(SALU_CYCLE_1)
	s_lshr_b32 s22, s12, s31
	s_mov_b32 s12, 0
	s_waitcnt lgkmcnt(0)
	s_mul_i32 s2, s22, s2
	s_sub_i32 s2, s3, s2
	s_delay_alu instid0(SALU_CYCLE_1) | instskip(NEXT) | instid1(SALU_CYCLE_1)
	s_mul_hi_u32 s3, s2, s8
	s_add_i32 s2, s2, s3
	s_delay_alu instid0(SALU_CYCLE_1) | instskip(NEXT) | instid1(SALU_CYCLE_1)
	s_lshr_b32 s23, s2, s9
	s_lshl_b32 s2, s23, 1
	s_delay_alu instid0(SALU_CYCLE_1) | instskip(NEXT) | instid1(SALU_CYCLE_1)
	s_add_i32 s2, s2, s14
	s_cmp_lt_i32 s2, s4
	s_cselect_b32 s2, -1, 0
	s_add_i32 s3, s22, s15
	s_delay_alu instid0(SALU_CYCLE_1) | instskip(SKIP_1) | instid1(SALU_CYCLE_1)
	s_cmp_lt_i32 s3, s6
	s_cselect_b32 s3, -1, 0
	s_and_b32 s2, s2, s3
	s_delay_alu instid0(SALU_CYCLE_1)
	s_and_not1_b32 vcc_lo, exec_lo, s2
	s_cbranch_vccnz .LBB12_24
; %bb.8:
	s_load_b128 s[0:3], s[0:1], 0x0
	s_lshl_b32 s24, s20, 3
	s_mov_b32 s25, s12
	s_add_i32 s17, s14, s15
	s_lshl_b64 s[24:25], s[24:25], 2
	s_mul_i32 s4, s18, s4
	s_mul_i32 s21, s21, s6
	v_cvt_f32_ubyte0_e32 v4, 0
	v_cvt_f32_u32_e32 v5, s20
	s_waitcnt lgkmcnt(0)
	s_add_u32 s18, s2, s24
	s_addc_u32 s19, s3, s25
	s_add_i32 s4, s4, s14
	s_delay_alu instid0(SALU_CYCLE_1) | instskip(SKIP_4) | instid1(SALU_CYCLE_1)
	s_mul_i32 s4, s4, s5
	s_mul_i32 s5, s5, s23
	s_add_i32 s4, s4, s15
	s_lshl_b32 s5, s5, 7
	s_add_i32 s4, s4, s21
	s_add_i32 s4, s4, s22
	s_delay_alu instid0(SALU_CYCLE_1) | instskip(NEXT) | instid1(SALU_CYCLE_1)
	s_lshl_b32 s4, s4, 6
	s_add_i32 s5, s5, s4
	s_delay_alu instid0(SALU_CYCLE_1) | instskip(SKIP_1) | instid1(VALU_DEP_2)
	v_or_b32_e32 v1, s5, v0
	v_lshl_or_b32 v0, s17, 6, v0
	v_ashrrev_i32_e32 v2, 31, v1
	s_delay_alu instid0(VALU_DEP_1) | instskip(NEXT) | instid1(VALU_DEP_1)
	v_lshlrev_b64 v[1:2], 2, v[1:2]
	v_add_co_u32 v1, vcc_lo, s0, v1
	s_delay_alu instid0(VALU_DEP_2) | instskip(SKIP_1) | instid1(SALU_CYCLE_1)
	v_add_co_ci_u32_e32 v2, vcc_lo, s1, v2, vcc_lo
	s_lshl_b32 s0, s13, 1
	s_add_i32 s0, s0, s17
	global_load_b32 v3, v[1:2], off
	s_ashr_i32 s1, s0, 31
	s_delay_alu instid0(SALU_CYCLE_1) | instskip(NEXT) | instid1(SALU_CYCLE_1)
	s_lshl_b64 s[0:1], s[0:1], 3
	s_add_u32 s0, s2, s0
	s_addc_u32 s1, s3, s1
	s_add_i32 s14, s13, -1
	s_load_b64 s[0:1], s[0:1], 0x0
	v_fmac_f32_e32 v5, 0x4f800000, v4
	s_sub_i32 s6, 0, s20
	s_waitcnt lgkmcnt(0)
	v_mov_b32_e32 v8, s0
	s_delay_alu instid0(VALU_DEP_2) | instskip(SKIP_2) | instid1(VALU_DEP_2)
	v_rcp_f32_e32 v4, v5
	v_cvt_f32_u32_e32 v5, s20
	v_mov_b32_e32 v7, s1
	v_rcp_iflag_f32_e32 v5, v5
	s_waitcnt_depctr 0xfff
	v_mul_f32_e32 v4, 0x5f7ffffc, v4
	s_delay_alu instid0(VALU_DEP_1) | instskip(SKIP_1) | instid1(VALU_DEP_2)
	v_mul_f32_e32 v6, 0x2f800000, v4
	v_mul_f32_e32 v9, 0x4f7ffffe, v5
	v_trunc_f32_e32 v6, v6
	s_delay_alu instid0(VALU_DEP_1) | instskip(SKIP_1) | instid1(VALU_DEP_4)
	v_fmac_f32_e32 v4, 0xcf800000, v6
	v_cvt_u32_f32_e32 v5, v6
	v_cvt_u32_f32_e32 v6, v9
	s_delay_alu instid0(VALU_DEP_3)
	v_cvt_u32_f32_e32 v4, v4
.LBB12_9:                               ; =>This Inner Loop Header: Depth=1
	s_mul_hi_i32 s13, s14, s7
	s_mul_i32 s4, s14, s7
	s_cmp_lg_u64 s[12:13], 0
	s_mov_b32 s5, -1
                                        ; implicit-def: $sgpr0_sgpr1
	s_cbranch_scc0 .LBB12_11
; %bb.10:                               ;   in Loop: Header=BB12_9 Depth=1
	v_readfirstlane_b32 s0, v4
	v_readfirstlane_b32 s1, v5
	s_sub_u32 s5, 0, s20
	s_subb_u32 s15, 0, 0
	s_delay_alu instid0(VALU_DEP_2) | instskip(NEXT) | instid1(VALU_DEP_1)
	s_mul_hi_u32 s21, s5, s0
	s_mul_i32 s22, s5, s1
	s_mul_i32 s23, s15, s0
	s_add_i32 s21, s21, s22
	s_mul_i32 s22, s5, s0
	s_add_i32 s21, s21, s23
	s_mul_hi_u32 s23, s0, s22
	s_mul_i32 s24, s0, s21
	s_mul_hi_u32 s0, s0, s21
	s_add_u32 s23, s23, s24
	s_mul_i32 s25, s1, s22
	s_addc_u32 s0, 0, s0
	s_mul_hi_u32 s22, s1, s22
	s_mul_hi_u32 s24, s1, s21
	s_add_u32 s23, s23, s25
	s_addc_u32 s0, s0, s22
	s_mul_i32 s21, s1, s21
	s_addc_u32 s22, s24, 0
	s_add_u32 s0, s0, s21
	s_addc_u32 s21, 0, s22
	v_add_co_u32 v9, s0, v4, s0
	s_delay_alu instid0(VALU_DEP_1) | instskip(SKIP_1) | instid1(VALU_DEP_1)
	s_cmp_lg_u32 s0, 0
	s_addc_u32 s1, s1, s21
	v_readfirstlane_b32 s0, v9
	s_mul_i32 s21, s5, s1
	s_delay_alu instid0(VALU_DEP_1)
	s_mul_hi_u32 s22, s5, s0
	s_mul_i32 s15, s15, s0
	s_add_i32 s21, s22, s21
	s_mul_i32 s5, s5, s0
	s_add_i32 s21, s21, s15
	s_mul_hi_u32 s15, s1, s5
	s_mul_i32 s23, s1, s5
	s_mul_i32 s24, s0, s21
	s_mul_hi_u32 s5, s0, s5
	s_mul_hi_u32 s0, s0, s21
	s_add_u32 s5, s5, s24
	s_addc_u32 s0, 0, s0
	s_mul_hi_u32 s22, s1, s21
	s_add_u32 s5, s5, s23
	s_addc_u32 s0, s0, s15
	s_mul_i32 s5, s1, s21
	s_addc_u32 s15, s22, 0
	s_add_u32 s0, s0, s5
	s_addc_u32 s5, 0, s15
	v_add_co_u32 v9, s0, v9, s0
	s_delay_alu instid0(VALU_DEP_1) | instskip(SKIP_2) | instid1(SALU_CYCLE_1)
	s_cmp_lg_u32 s0, 0
	s_addc_u32 s5, s1, s5
	s_ashr_i32 s0, s13, 31
	s_add_u32 s22, s4, s0
	s_addc_u32 s23, s13, s0
	v_readfirstlane_b32 s13, v9
	s_mov_b32 s1, s0
	s_delay_alu instid0(SALU_CYCLE_1) | instskip(NEXT) | instid1(SALU_CYCLE_1)
	s_xor_b64 s[22:23], s[22:23], s[0:1]
	s_mul_i32 s15, s22, s5
	s_delay_alu instid0(VALU_DEP_1)
	s_mul_hi_u32 s21, s22, s13
	s_mul_hi_u32 s24, s22, s5
	s_add_u32 s15, s21, s15
	s_mul_i32 s25, s23, s13
	s_addc_u32 s21, 0, s24
	s_mul_hi_u32 s13, s23, s13
	s_mul_hi_u32 s24, s23, s5
	s_add_u32 s15, s15, s25
	s_addc_u32 s13, s21, s13
	s_mul_i32 s5, s23, s5
	s_addc_u32 s15, s24, 0
	s_add_u32 s5, s13, s5
	s_addc_u32 s13, 0, s15
	s_mul_i32 s21, s20, s5
	s_add_u32 s15, s5, 1
	v_sub_co_u32 v9, s21, s22, s21
	s_addc_u32 s22, s13, 0
	s_mul_i32 s25, s20, s13
	s_mul_hi_u32 s27, s20, s5
	s_delay_alu instid0(VALU_DEP_1)
	v_sub_co_u32 v10, s26, v9, s20
	s_add_u32 s24, s5, 2
	s_addc_u32 s28, s13, 0
	s_add_i32 s27, s27, s25
	s_cmp_lg_u32 s21, 0
	v_readfirstlane_b32 s21, v10
	s_subb_u32 s23, s23, s27
	s_cmp_lg_u32 s26, 0
	s_subb_u32 s25, s23, 0
	s_delay_alu instid0(VALU_DEP_1) | instskip(SKIP_4) | instid1(SALU_CYCLE_1)
	s_cmp_ge_u32 s21, s20
	s_cselect_b32 s21, -1, 0
	s_cmp_eq_u32 s25, 0
	v_readfirstlane_b32 s25, v9
	s_cselect_b32 s21, s21, -1
	s_cmp_lg_u32 s21, 0
	s_cselect_b32 s15, s24, s15
	s_cselect_b32 s21, s28, s22
	s_cmp_ge_u32 s25, s20
	s_cselect_b32 s22, -1, 0
	s_cmp_eq_u32 s23, 0
	s_cselect_b32 s22, s22, -1
	s_delay_alu instid0(SALU_CYCLE_1) | instskip(SKIP_4) | instid1(SALU_CYCLE_1)
	s_cmp_lg_u32 s22, 0
	s_cselect_b32 s23, s21, s13
	s_cselect_b32 s22, s15, s5
	s_mov_b32 s5, 0
	s_xor_b64 s[22:23], s[22:23], s[0:1]
	s_sub_u32 s0, s22, s0
.LBB12_11:                              ;   in Loop: Header=BB12_9 Depth=1
	s_and_not1_b32 vcc_lo, exec_lo, s5
	s_cbranch_vccnz .LBB12_13
; %bb.12:                               ;   in Loop: Header=BB12_9 Depth=1
	v_readfirstlane_b32 s0, v6
	s_delay_alu instid0(VALU_DEP_1) | instskip(NEXT) | instid1(SALU_CYCLE_1)
	s_mul_i32 s1, s6, s0
	s_mul_hi_u32 s1, s0, s1
	s_delay_alu instid0(SALU_CYCLE_1) | instskip(NEXT) | instid1(SALU_CYCLE_1)
	s_add_i32 s0, s0, s1
	s_mul_hi_u32 s0, s4, s0
	s_delay_alu instid0(SALU_CYCLE_1) | instskip(NEXT) | instid1(SALU_CYCLE_1)
	s_mul_i32 s1, s0, s20
	s_sub_i32 s1, s4, s1
	s_add_i32 s4, s0, 1
	s_sub_i32 s5, s1, s20
	s_cmp_ge_u32 s1, s20
	s_cselect_b32 s0, s4, s0
	s_cselect_b32 s1, s5, s1
	s_add_i32 s4, s0, 1
	s_cmp_ge_u32 s1, s20
	s_cselect_b32 s0, s4, s0
.LBB12_13:                              ;   in Loop: Header=BB12_9 Depth=1
	s_delay_alu instid0(SALU_CYCLE_1)
	s_cmp_lg_u32 s16, s0
	s_cbranch_scc0 .LBB12_17
; %bb.14:                               ;   in Loop: Header=BB12_9 Depth=1
	s_add_i32 s1, s14, s20
	s_mov_b32 s5, s12
	s_lshl_b32 s1, s1, 1
	s_mov_b32 s15, s16
	s_add_i32 s4, s1, s17
	s_mul_hi_u32 s1, s0, s8
	s_lshl_b64 s[4:5], s[4:5], 3
	s_delay_alu instid0(SALU_CYCLE_1) | instskip(SKIP_2) | instid1(SALU_CYCLE_1)
	s_add_u32 s4, s2, s4
	s_addc_u32 s5, s3, s5
	s_add_i32 s1, s1, s0
	s_lshr_b32 s1, s1, s9
	s_delay_alu instid0(SALU_CYCLE_1) | instskip(NEXT) | instid1(SALU_CYCLE_1)
	s_mul_i32 s13, s1, s10
	s_cmp_eq_u32 s13, s0
	s_cselect_b32 s13, -1, 0
	s_cmp_lt_u32 s1, s11
	s_cselect_b32 s1, -1, 0
	s_delay_alu instid0(SALU_CYCLE_1)
	s_or_b32 s1, s1, s13
	s_mov_b32 s13, -1
	s_and_b32 vcc_lo, exec_lo, s1
	s_mov_b32 s1, s14
	s_cbranch_vccnz .LBB12_16
; %bb.15:                               ;   in Loop: Header=BB12_9 Depth=1
	s_add_i32 s1, s14, -1
	s_mov_b32 s13, 0
	s_mov_b32 s15, s0
.LBB12_16:                              ;   in Loop: Header=BB12_9 Depth=1
	v_lshl_add_u32 v9, s14, 7, v0
	s_load_b64 s[4:5], s[4:5], 0x0
	s_delay_alu instid0(VALU_DEP_1) | instskip(NEXT) | instid1(VALU_DEP_1)
	v_ashrrev_i32_e32 v10, 31, v9
	v_lshlrev_b64 v[9:10], 2, v[9:10]
	s_delay_alu instid0(VALU_DEP_1) | instskip(NEXT) | instid1(VALU_DEP_2)
	v_add_co_u32 v9, vcc_lo, s18, v9
	v_add_co_ci_u32_e32 v10, vcc_lo, s19, v10, vcc_lo
	s_waitcnt lgkmcnt(0)
	v_max_f32_e64 v11, s4, s4
	global_load_b32 v10, v[9:10], off
	v_max_f32_e32 v9, v8, v8
	s_delay_alu instid0(VALU_DEP_1) | instskip(NEXT) | instid1(VALU_DEP_1)
	v_max_f32_e32 v9, v9, v11
	v_sub_f32_e32 v12, v8, v9
	s_delay_alu instid0(VALU_DEP_1) | instskip(NEXT) | instid1(VALU_DEP_1)
	v_dual_mul_f32 v14, 0x3fb8aa3b, v12 :: v_dual_sub_f32 v11, s4, v9
	v_rndne_f32_e32 v18, v14
	s_delay_alu instid0(VALU_DEP_2) | instskip(SKIP_2) | instid1(VALU_DEP_4)
	v_mul_f32_e32 v13, 0x3fb8aa3b, v11
	v_fma_f32 v17, 0x3fb8aa3b, v12, -v14
	v_cmp_ngt_f32_e32 vcc_lo, 0xc2ce8ed0, v11
	v_sub_f32_e32 v14, v14, v18
	s_delay_alu instid0(VALU_DEP_4) | instskip(SKIP_2) | instid1(VALU_DEP_3)
	v_fma_f32 v15, 0x3fb8aa3b, v11, -v13
	v_rndne_f32_e32 v16, v13
	v_fmac_f32_e32 v17, 0x32a5705f, v12
	v_fmac_f32_e32 v15, 0x32a5705f, v11
	s_delay_alu instid0(VALU_DEP_2) | instskip(NEXT) | instid1(VALU_DEP_1)
	v_dual_sub_f32 v13, v13, v16 :: v_dual_add_f32 v14, v14, v17
	v_add_f32_e32 v13, v13, v15
	s_delay_alu instid0(VALU_DEP_2) | instskip(SKIP_2) | instid1(VALU_DEP_3)
	v_exp_f32_e32 v14, v14
	v_cvt_i32_f32_e32 v15, v16
	v_cvt_i32_f32_e32 v16, v18
	v_exp_f32_e32 v13, v13
	s_waitcnt_depctr 0xfff
	v_ldexp_f32 v14, v14, v16
	v_ldexp_f32 v13, v13, v15
	s_delay_alu instid0(VALU_DEP_1) | instskip(SKIP_1) | instid1(VALU_DEP_4)
	v_cndmask_b32_e32 v13, 0, v13, vcc_lo
	v_cmp_ngt_f32_e32 vcc_lo, 0xc2ce8ed0, v12
	v_cndmask_b32_e32 v14, 0, v14, vcc_lo
	v_cmp_nlt_f32_e32 vcc_lo, 0x42b17218, v11
	s_delay_alu instid0(VALU_DEP_4) | instskip(SKIP_1) | instid1(VALU_DEP_4)
	v_cndmask_b32_e32 v13, 0x7f800000, v13, vcc_lo
	v_cmp_nlt_f32_e32 vcc_lo, 0x42b17218, v12
	v_cndmask_b32_e32 v14, 0x7f800000, v14, vcc_lo
	v_cmp_le_f32_e32 vcc_lo, 0xc1a00000, v11
	s_delay_alu instid0(VALU_DEP_4) | instskip(SKIP_1) | instid1(VALU_DEP_4)
	v_cndmask_b32_e32 v11, 0, v13, vcc_lo
	v_cmp_le_f32_e32 vcc_lo, 0xc1a00000, v12
	v_cndmask_b32_e32 v12, 0, v14, vcc_lo
	s_waitcnt vmcnt(0)
	s_delay_alu instid0(VALU_DEP_3) | instskip(NEXT) | instid1(VALU_DEP_1)
	v_mul_f32_e32 v10, v10, v11
	v_dual_mul_f32 v11, s5, v11 :: v_dual_fmac_f32 v10, v3, v12
	s_delay_alu instid0(VALU_DEP_1)
	v_fmac_f32_e32 v11, v7, v12
	s_cbranch_execz .LBB12_18
	s_branch .LBB12_19
.LBB12_17:                              ;   in Loop: Header=BB12_9 Depth=1
                                        ; implicit-def: $sgpr13
                                        ; implicit-def: $vgpr10
                                        ; implicit-def: $vgpr9
                                        ; implicit-def: $vgpr11
                                        ; implicit-def: $sgpr1
                                        ; implicit-def: $sgpr15
.LBB12_18:                              ;   in Loop: Header=BB12_9 Depth=1
	v_mov_b32_e32 v11, v7
	s_waitcnt vmcnt(0)
	v_dual_mov_b32 v9, v8 :: v_dual_mov_b32 v10, v3
	s_add_i32 s1, s14, -1
	s_mov_b32 s13, 0
	s_mov_b32 s15, s16
.LBB12_19:                              ;   in Loop: Header=BB12_9 Depth=1
	s_and_not1_b32 vcc_lo, exec_lo, s13
	s_cbranch_vccz .LBB12_23
; %bb.20:                               ;   in Loop: Header=BB12_9 Depth=1
	v_dual_mov_b32 v7, v11 :: v_dual_mov_b32 v8, v9
	s_waitcnt vmcnt(0)
	v_mov_b32_e32 v3, v10
	s_mov_b32 s16, s15
	s_mov_b32 s14, s1
	s_branch .LBB12_9
.LBB12_21:
                                        ; implicit-def: $sgpr16_sgpr17
	s_load_b128 s[8:11], s[0:1], 0x44
	s_branch .LBB12_2
.LBB12_22:
                                        ; implicit-def: $sgpr18_sgpr19
	s_branch .LBB12_5
.LBB12_23:
	v_div_scale_f32 v0, null, v11, v11, v10
	s_waitcnt vmcnt(0)
	s_delay_alu instid0(VALU_DEP_1) | instskip(SKIP_2) | instid1(VALU_DEP_1)
	v_rcp_f32_e32 v3, v0
	s_waitcnt_depctr 0xfff
	v_fma_f32 v4, -v0, v3, 1.0
	v_fmac_f32_e32 v3, v4, v3
	v_div_scale_f32 v4, vcc_lo, v10, v11, v10
	s_delay_alu instid0(VALU_DEP_1) | instskip(NEXT) | instid1(VALU_DEP_1)
	v_mul_f32_e32 v5, v4, v3
	v_fma_f32 v6, -v0, v5, v4
	s_delay_alu instid0(VALU_DEP_1) | instskip(NEXT) | instid1(VALU_DEP_1)
	v_fmac_f32_e32 v5, v6, v3
	v_fma_f32 v0, -v0, v5, v4
	s_delay_alu instid0(VALU_DEP_1) | instskip(NEXT) | instid1(VALU_DEP_1)
	v_div_fmas_f32 v0, v0, v3, v5
	v_div_fixup_f32 v0, v0, v11, v10
	global_store_b32 v[1:2], v0, off
.LBB12_24:
	s_nop 0
	s_sendmsg sendmsg(MSG_DEALLOC_VGPRS)
	s_endpgm
	.section	.rodata,"a",@progbits
	.p2align	6, 0x0
	.amdhsa_kernel _ZL33flash_attn_stream_k_fixup_generalILi64ELi2ELi1EEvPfPK15HIP_vector_typeIfLj2EEiiiiS1_IjLj3EES5_S5_S5_
		.amdhsa_group_segment_fixed_size 0
		.amdhsa_private_segment_fixed_size 0
		.amdhsa_kernarg_size 336
		.amdhsa_user_sgpr_count 13
		.amdhsa_user_sgpr_dispatch_ptr 0
		.amdhsa_user_sgpr_queue_ptr 0
		.amdhsa_user_sgpr_kernarg_segment_ptr 1
		.amdhsa_user_sgpr_dispatch_id 0
		.amdhsa_user_sgpr_private_segment_size 0
		.amdhsa_wavefront_size32 1
		.amdhsa_uses_dynamic_stack 0
		.amdhsa_enable_private_segment 0
		.amdhsa_system_sgpr_workgroup_id_x 1
		.amdhsa_system_sgpr_workgroup_id_y 1
		.amdhsa_system_sgpr_workgroup_id_z 1
		.amdhsa_system_sgpr_workgroup_info 0
		.amdhsa_system_vgpr_workitem_id 0
		.amdhsa_next_free_vgpr 19
		.amdhsa_next_free_sgpr 32
		.amdhsa_reserve_vcc 1
		.amdhsa_float_round_mode_32 0
		.amdhsa_float_round_mode_16_64 0
		.amdhsa_float_denorm_mode_32 3
		.amdhsa_float_denorm_mode_16_64 3
		.amdhsa_dx10_clamp 1
		.amdhsa_ieee_mode 1
		.amdhsa_fp16_overflow 0
		.amdhsa_workgroup_processor_mode 1
		.amdhsa_memory_ordered 1
		.amdhsa_forward_progress 0
		.amdhsa_shared_vgpr_count 0
		.amdhsa_exception_fp_ieee_invalid_op 0
		.amdhsa_exception_fp_denorm_src 0
		.amdhsa_exception_fp_ieee_div_zero 0
		.amdhsa_exception_fp_ieee_overflow 0
		.amdhsa_exception_fp_ieee_underflow 0
		.amdhsa_exception_fp_ieee_inexact 0
		.amdhsa_exception_int_div_zero 0
	.end_amdhsa_kernel
	.section	.text._ZL33flash_attn_stream_k_fixup_generalILi64ELi2ELi1EEvPfPK15HIP_vector_typeIfLj2EEiiiiS1_IjLj3EES5_S5_S5_,"axG",@progbits,_ZL33flash_attn_stream_k_fixup_generalILi64ELi2ELi1EEvPfPK15HIP_vector_typeIfLj2EEiiiiS1_IjLj3EES5_S5_S5_,comdat
.Lfunc_end12:
	.size	_ZL33flash_attn_stream_k_fixup_generalILi64ELi2ELi1EEvPfPK15HIP_vector_typeIfLj2EEiiiiS1_IjLj3EES5_S5_S5_, .Lfunc_end12-_ZL33flash_attn_stream_k_fixup_generalILi64ELi2ELi1EEvPfPK15HIP_vector_typeIfLj2EEiiiiS1_IjLj3EES5_S5_S5_
                                        ; -- End function
	.section	.AMDGPU.csdata,"",@progbits
; Kernel info:
; codeLenInByte = 3220
; NumSgprs: 34
; NumVgprs: 19
; ScratchSize: 0
; MemoryBound: 0
; FloatMode: 240
; IeeeMode: 1
; LDSByteSize: 0 bytes/workgroup (compile time only)
; SGPRBlocks: 4
; VGPRBlocks: 2
; NumSGPRsForWavesPerEU: 34
; NumVGPRsForWavesPerEU: 19
; Occupancy: 16
; WaveLimiterHint : 0
; COMPUTE_PGM_RSRC2:SCRATCH_EN: 0
; COMPUTE_PGM_RSRC2:USER_SGPR: 13
; COMPUTE_PGM_RSRC2:TRAP_HANDLER: 0
; COMPUTE_PGM_RSRC2:TGID_X_EN: 1
; COMPUTE_PGM_RSRC2:TGID_Y_EN: 1
; COMPUTE_PGM_RSRC2:TGID_Z_EN: 1
; COMPUTE_PGM_RSRC2:TIDIG_COMP_CNT: 0
	.section	.text._ZL18flash_attn_ext_vecILi64ELi2EL9ggml_type30ELS0_1ELb1EEvPKcS2_S2_S2_S2_PKiPfP15HIP_vector_typeIfLj2EEffffjfiS6_IjLj3EEiiiiiiiiiiiliiliiiiil,"axG",@progbits,_ZL18flash_attn_ext_vecILi64ELi2EL9ggml_type30ELS0_1ELb1EEvPKcS2_S2_S2_S2_PKiPfP15HIP_vector_typeIfLj2EEffffjfiS6_IjLj3EEiiiiiiiiiiiliiliiiiil,comdat
	.globl	_ZL18flash_attn_ext_vecILi64ELi2EL9ggml_type30ELS0_1ELb1EEvPKcS2_S2_S2_S2_PKiPfP15HIP_vector_typeIfLj2EEffffjfiS6_IjLj3EEiiiiiiiiiiiliiliiiiil ; -- Begin function _ZL18flash_attn_ext_vecILi64ELi2EL9ggml_type30ELS0_1ELb1EEvPKcS2_S2_S2_S2_PKiPfP15HIP_vector_typeIfLj2EEffffjfiS6_IjLj3EEiiiiiiiiiiiliiliiiiil
	.p2align	8
	.type	_ZL18flash_attn_ext_vecILi64ELi2EL9ggml_type30ELS0_1ELb1EEvPKcS2_S2_S2_S2_PKiPfP15HIP_vector_typeIfLj2EEffffjfiS6_IjLj3EEiiiiiiiiiiiliiliiiiil,@function
_ZL18flash_attn_ext_vecILi64ELi2EL9ggml_type30ELS0_1ELb1EEvPKcS2_S2_S2_S2_PKiPfP15HIP_vector_typeIfLj2EEffffjfiS6_IjLj3EEiiiiiiiiiiiliiliiiiil: ; @_ZL18flash_attn_ext_vecILi64ELi2EL9ggml_type30ELS0_1ELb1EEvPKcS2_S2_S2_S2_PKiPfP15HIP_vector_typeIfLj2EEffffjfiS6_IjLj3EEiiiiiiiiiiiliiliiiiil
; %bb.0:
	s_add_u32 s8, s0, 0xd0
	s_addc_u32 s9, s1, 0
	s_mov_b32 s32, 0
	s_getpc_b64 s[0:1]
	s_add_u32 s0, s0, _ZL14no_device_codePKciS0_iS0_@rel32@lo+4
	s_addc_u32 s1, s1, _ZL14no_device_codePKciS0_iS0_@rel32@hi+12
	s_delay_alu instid0(SALU_CYCLE_1)
	s_swappc_b64 s[30:31], s[0:1]
	.section	.rodata,"a",@progbits
	.p2align	6, 0x0
	.amdhsa_kernel _ZL18flash_attn_ext_vecILi64ELi2EL9ggml_type30ELS0_1ELb1EEvPKcS2_S2_S2_S2_PKiPfP15HIP_vector_typeIfLj2EEffffjfiS6_IjLj3EEiiiiiiiiiiiliiliiiiil
		.amdhsa_group_segment_fixed_size 0
		.amdhsa_private_segment_fixed_size 16
		.amdhsa_kernarg_size 464
		.amdhsa_user_sgpr_count 15
		.amdhsa_user_sgpr_dispatch_ptr 0
		.amdhsa_user_sgpr_queue_ptr 0
		.amdhsa_user_sgpr_kernarg_segment_ptr 1
		.amdhsa_user_sgpr_dispatch_id 0
		.amdhsa_user_sgpr_private_segment_size 0
		.amdhsa_wavefront_size32 1
		.amdhsa_uses_dynamic_stack 0
		.amdhsa_enable_private_segment 1
		.amdhsa_system_sgpr_workgroup_id_x 1
		.amdhsa_system_sgpr_workgroup_id_y 0
		.amdhsa_system_sgpr_workgroup_id_z 0
		.amdhsa_system_sgpr_workgroup_info 0
		.amdhsa_system_vgpr_workitem_id 0
		.amdhsa_next_free_vgpr 37
		.amdhsa_next_free_sgpr 34
		.amdhsa_reserve_vcc 1
		.amdhsa_float_round_mode_32 0
		.amdhsa_float_round_mode_16_64 0
		.amdhsa_float_denorm_mode_32 3
		.amdhsa_float_denorm_mode_16_64 3
		.amdhsa_dx10_clamp 1
		.amdhsa_ieee_mode 1
		.amdhsa_fp16_overflow 0
		.amdhsa_workgroup_processor_mode 1
		.amdhsa_memory_ordered 1
		.amdhsa_forward_progress 0
		.amdhsa_shared_vgpr_count 0
		.amdhsa_exception_fp_ieee_invalid_op 0
		.amdhsa_exception_fp_denorm_src 0
		.amdhsa_exception_fp_ieee_div_zero 0
		.amdhsa_exception_fp_ieee_overflow 0
		.amdhsa_exception_fp_ieee_underflow 0
		.amdhsa_exception_fp_ieee_inexact 0
		.amdhsa_exception_int_div_zero 0
	.end_amdhsa_kernel
	.section	.text._ZL18flash_attn_ext_vecILi64ELi2EL9ggml_type30ELS0_1ELb1EEvPKcS2_S2_S2_S2_PKiPfP15HIP_vector_typeIfLj2EEffffjfiS6_IjLj3EEiiiiiiiiiiiliiliiiiil,"axG",@progbits,_ZL18flash_attn_ext_vecILi64ELi2EL9ggml_type30ELS0_1ELb1EEvPKcS2_S2_S2_S2_PKiPfP15HIP_vector_typeIfLj2EEffffjfiS6_IjLj3EEiiiiiiiiiiiliiliiiiil,comdat
.Lfunc_end13:
	.size	_ZL18flash_attn_ext_vecILi64ELi2EL9ggml_type30ELS0_1ELb1EEvPKcS2_S2_S2_S2_PKiPfP15HIP_vector_typeIfLj2EEffffjfiS6_IjLj3EEiiiiiiiiiiiliiliiiiil, .Lfunc_end13-_ZL18flash_attn_ext_vecILi64ELi2EL9ggml_type30ELS0_1ELb1EEvPKcS2_S2_S2_S2_PKiPfP15HIP_vector_typeIfLj2EEffffjfiS6_IjLj3EEiiiiiiiiiiiliiliiiiil
                                        ; -- End function
	.section	.AMDGPU.csdata,"",@progbits
; Kernel info:
; codeLenInByte = 44
; NumSgprs: 36
; NumVgprs: 37
; ScratchSize: 16
; MemoryBound: 0
; FloatMode: 240
; IeeeMode: 1
; LDSByteSize: 0 bytes/workgroup (compile time only)
; SGPRBlocks: 4
; VGPRBlocks: 4
; NumSGPRsForWavesPerEU: 36
; NumVGPRsForWavesPerEU: 37
; Occupancy: 16
; WaveLimiterHint : 1
; COMPUTE_PGM_RSRC2:SCRATCH_EN: 1
; COMPUTE_PGM_RSRC2:USER_SGPR: 15
; COMPUTE_PGM_RSRC2:TRAP_HANDLER: 0
; COMPUTE_PGM_RSRC2:TGID_X_EN: 1
; COMPUTE_PGM_RSRC2:TGID_Y_EN: 0
; COMPUTE_PGM_RSRC2:TGID_Z_EN: 0
; COMPUTE_PGM_RSRC2:TIDIG_COMP_CNT: 0
	.section	.text._ZL18flash_attn_ext_vecILi128ELi1EL9ggml_type30ELS0_1ELb0EEvPKcS2_S2_S2_S2_PKiPfP15HIP_vector_typeIfLj2EEffffjfiS6_IjLj3EEiiiiiiiiiiiliiliiiiil,"axG",@progbits,_ZL18flash_attn_ext_vecILi128ELi1EL9ggml_type30ELS0_1ELb0EEvPKcS2_S2_S2_S2_PKiPfP15HIP_vector_typeIfLj2EEffffjfiS6_IjLj3EEiiiiiiiiiiiliiliiiiil,comdat
	.globl	_ZL18flash_attn_ext_vecILi128ELi1EL9ggml_type30ELS0_1ELb0EEvPKcS2_S2_S2_S2_PKiPfP15HIP_vector_typeIfLj2EEffffjfiS6_IjLj3EEiiiiiiiiiiiliiliiiiil ; -- Begin function _ZL18flash_attn_ext_vecILi128ELi1EL9ggml_type30ELS0_1ELb0EEvPKcS2_S2_S2_S2_PKiPfP15HIP_vector_typeIfLj2EEffffjfiS6_IjLj3EEiiiiiiiiiiiliiliiiiil
	.p2align	8
	.type	_ZL18flash_attn_ext_vecILi128ELi1EL9ggml_type30ELS0_1ELb0EEvPKcS2_S2_S2_S2_PKiPfP15HIP_vector_typeIfLj2EEffffjfiS6_IjLj3EEiiiiiiiiiiiliiliiiiil,@function
_ZL18flash_attn_ext_vecILi128ELi1EL9ggml_type30ELS0_1ELb0EEvPKcS2_S2_S2_S2_PKiPfP15HIP_vector_typeIfLj2EEffffjfiS6_IjLj3EEiiiiiiiiiiiliiliiiiil: ; @_ZL18flash_attn_ext_vecILi128ELi1EL9ggml_type30ELS0_1ELb0EEvPKcS2_S2_S2_S2_PKiPfP15HIP_vector_typeIfLj2EEffffjfiS6_IjLj3EEiiiiiiiiiiiliiliiiiil
; %bb.0:
	s_clause 0x3
	s_load_b64 s[34:35], s[0:1], 0x64
	s_load_b64 s[42:43], s[0:1], 0x80
	;; [unrolled: 1-line block ×3, first 2 shown]
	s_load_b128 s[36:39], s[0:1], 0x40
	v_mov_b32_e32 v24, 1.0
	s_waitcnt lgkmcnt(0)
	v_cvt_f32_u32_e32 v1, s35
	s_sub_i32 s3, 0, s35
	s_delay_alu instid0(VALU_DEP_1) | instskip(SKIP_2) | instid1(VALU_DEP_1)
	v_rcp_iflag_f32_e32 v1, v1
	s_waitcnt_depctr 0xfff
	v_mul_f32_e32 v1, 0x4f7ffffe, v1
	v_cvt_u32_f32_e32 v1, v1
	s_delay_alu instid0(VALU_DEP_1) | instskip(NEXT) | instid1(VALU_DEP_1)
	v_readfirstlane_b32 s2, v1
	s_mul_i32 s3, s3, s2
	s_delay_alu instid0(SALU_CYCLE_1) | instskip(NEXT) | instid1(SALU_CYCLE_1)
	s_mul_hi_u32 s3, s2, s3
	s_add_i32 s2, s2, s3
	s_delay_alu instid0(SALU_CYCLE_1) | instskip(NEXT) | instid1(SALU_CYCLE_1)
	s_mul_hi_u32 s2, s15, s2
	s_mul_i32 s3, s2, s35
	s_add_i32 s6, s2, 1
	s_sub_i32 s3, s15, s3
	s_delay_alu instid0(SALU_CYCLE_1)
	s_sub_i32 s7, s3, s35
	s_cmp_ge_u32 s3, s35
	s_cselect_b32 s2, s6, s2
	s_cselect_b32 s3, s7, s3
	s_add_i32 s6, s2, 1
	s_cmp_ge_u32 s3, s35
	s_cselect_b32 s12, s6, s2
	s_abs_i32 s2, s43
	s_abs_i32 s8, s35
	v_cvt_f32_u32_e32 v1, s2
	s_sub_i32 s6, 0, s2
	s_xor_b32 s7, s35, s43
	s_delay_alu instid0(SALU_CYCLE_1) | instskip(NEXT) | instid1(VALU_DEP_1)
	s_ashr_i32 s7, s7, 31
	v_rcp_iflag_f32_e32 v1, v1
	s_waitcnt_depctr 0xfff
	v_mul_f32_e32 v1, 0x4f7ffffe, v1
	s_delay_alu instid0(VALU_DEP_1) | instskip(NEXT) | instid1(VALU_DEP_1)
	v_cvt_u32_f32_e32 v1, v1
	v_readfirstlane_b32 s3, v1
	s_delay_alu instid0(VALU_DEP_1) | instskip(NEXT) | instid1(SALU_CYCLE_1)
	s_mul_i32 s6, s6, s3
	s_mul_hi_u32 s6, s3, s6
	s_delay_alu instid0(SALU_CYCLE_1) | instskip(SKIP_4) | instid1(SALU_CYCLE_1)
	s_add_i32 s3, s3, s6
	s_mul_i32 s6, s12, s35
	s_mul_hi_u32 s3, s8, s3
	s_sub_i32 s40, s15, s6
	s_mul_i32 s9, s3, s2
	s_sub_i32 s6, s8, s9
	s_add_i32 s8, s3, 1
	s_sub_i32 s9, s6, s2
	s_cmp_ge_u32 s6, s2
	s_cselect_b32 s3, s8, s3
	s_cselect_b32 s6, s9, s6
	s_add_i32 s8, s3, 1
	s_cmp_ge_u32 s6, s2
	s_cselect_b32 s2, s8, s3
	s_abs_i32 s15, s4
	s_xor_b32 s2, s2, s7
	v_cvt_f32_u32_e32 v1, s15
	s_sub_i32 s7, s2, s7
	s_load_b32 s2, s[0:1], 0x50
	s_abs_i32 s6, s7
	v_cmp_le_f32_e64 s3, s37, 0
	v_cvt_f32_u32_e32 v2, s6
	v_rcp_iflag_f32_e32 v1, v1
	s_delay_alu instid0(VALU_DEP_2) | instskip(NEXT) | instid1(VALU_DEP_1)
	s_and_b32 vcc_lo, exec_lo, s3
	v_rcp_iflag_f32_e32 v2, v2
	s_waitcnt_depctr 0xfff
	v_dual_mul_f32 v1, 0x4f7ffffe, v1 :: v_dual_mul_f32 v2, 0x4f7ffffe, v2
	s_delay_alu instid0(VALU_DEP_1) | instskip(NEXT) | instid1(VALU_DEP_2)
	v_cvt_u32_f32_e32 v1, v1
	v_cvt_u32_f32_e32 v2, v2
	s_delay_alu instid0(VALU_DEP_2) | instskip(NEXT) | instid1(VALU_DEP_2)
	v_readfirstlane_b32 s8, v1
	v_readfirstlane_b32 s9, v2
	s_cbranch_vccnz .LBB14_2
; %bb.1:
	s_waitcnt lgkmcnt(0)
	s_sub_i32 s3, s40, s2
	s_add_i32 s4, s40, 1
	s_lshl_b32 s3, s3, 1
	v_mov_b32_e32 v1, s38
	s_or_b32 s3, s3, 1
	s_cmp_lt_u32 s40, s2
	s_cselect_b32 vcc_lo, -1, 0
	s_delay_alu instid0(VALU_DEP_1)
	v_cndmask_b32_e32 v3, s39, v1, vcc_lo
	s_and_b32 s2, vcc_lo, exec_lo
	s_cselect_b32 s2, s4, s3
	s_mov_b32 s3, 0x3e76c4e1
	v_cvt_f32_i32_e32 v1, s2
	v_cmp_neq_f32_e32 vcc_lo, 1.0, v3
	s_delay_alu instid0(VALU_DEP_2) | instskip(NEXT) | instid1(VALU_DEP_1)
	v_cndmask_b32_e32 v4, 1.0, v1, vcc_lo
	v_cmp_eq_f32_e32 vcc_lo, 0, v4
	v_cndmask_b32_e64 v5, |v3|, 1.0, vcc_lo
	s_delay_alu instid0(VALU_DEP_1) | instskip(NEXT) | instid1(VALU_DEP_1)
	v_frexp_mant_f32_e32 v1, v5
	v_cmp_gt_f32_e64 s2, 0x3f2aaaab, v1
	s_delay_alu instid0(VALU_DEP_1) | instskip(NEXT) | instid1(VALU_DEP_1)
	v_cndmask_b32_e64 v2, 1.0, 2.0, s2
	v_mul_f32_e32 v1, v1, v2
	s_delay_alu instid0(VALU_DEP_1) | instskip(SKIP_1) | instid1(VALU_DEP_2)
	v_add_f32_e32 v2, 1.0, v1
	v_add_f32_e32 v7, -1.0, v1
	v_rcp_f32_e32 v6, v2
	s_waitcnt_depctr 0xfff
	v_mul_f32_e32 v8, v7, v6
	s_delay_alu instid0(VALU_DEP_1) | instskip(NEXT) | instid1(VALU_DEP_1)
	v_dual_add_f32 v9, -1.0, v2 :: v_dual_mul_f32 v10, v2, v8
	v_sub_f32_e32 v1, v1, v9
	v_cndmask_b32_e64 v3, v3, 1.0, vcc_lo
	s_delay_alu instid0(VALU_DEP_3) | instskip(NEXT) | instid1(VALU_DEP_2)
	v_fma_f32 v2, v8, v2, -v10
	v_cmp_eq_f32_e64 s4, 0, v3
	s_delay_alu instid0(VALU_DEP_2) | instskip(NEXT) | instid1(VALU_DEP_1)
	v_fmac_f32_e32 v2, v8, v1
	v_add_f32_e32 v1, v10, v2
	s_delay_alu instid0(VALU_DEP_1) | instskip(NEXT) | instid1(VALU_DEP_1)
	v_dual_sub_f32 v10, v1, v10 :: v_dual_sub_f32 v9, v7, v1
	v_dual_sub_f32 v2, v10, v2 :: v_dual_sub_f32 v7, v7, v9
	s_delay_alu instid0(VALU_DEP_1) | instskip(NEXT) | instid1(VALU_DEP_1)
	v_sub_f32_e32 v1, v7, v1
	v_add_f32_e32 v1, v2, v1
	s_delay_alu instid0(VALU_DEP_1) | instskip(NEXT) | instid1(VALU_DEP_1)
	v_add_f32_e32 v1, v9, v1
	v_mul_f32_e32 v1, v6, v1
	s_delay_alu instid0(VALU_DEP_1) | instskip(NEXT) | instid1(VALU_DEP_1)
	v_add_f32_e32 v6, v8, v1
	v_sub_f32_e32 v2, v6, v8
	v_mul_f32_e32 v7, v6, v6
	s_delay_alu instid0(VALU_DEP_2) | instskip(NEXT) | instid1(VALU_DEP_2)
	v_sub_f32_e32 v8, v1, v2
	v_fma_f32 v9, v6, v6, -v7
	s_delay_alu instid0(VALU_DEP_2) | instskip(NEXT) | instid1(VALU_DEP_1)
	v_add_f32_e32 v1, v8, v8
	v_fmac_f32_e32 v9, v6, v1
	v_cvt_f64_f32_e32 v[1:2], v5
	s_delay_alu instid0(VALU_DEP_2) | instskip(NEXT) | instid1(VALU_DEP_1)
	v_add_f32_e32 v10, v7, v9
	v_fmaak_f32 v11, s3, v10, 0x3e91f4c4
	v_sub_f32_e32 v7, v10, v7
	v_mul_f32_e32 v14, v6, v10
	s_delay_alu instid0(VALU_DEP_3) | instskip(NEXT) | instid1(VALU_DEP_3)
	v_fmaak_f32 v11, v10, v11, 0x3ecccdef
	v_sub_f32_e32 v7, v9, v7
	s_delay_alu instid0(VALU_DEP_2) | instskip(NEXT) | instid1(VALU_DEP_1)
	v_mul_f32_e32 v12, v10, v11
	v_fma_f32 v9, v10, v11, -v12
	s_delay_alu instid0(VALU_DEP_1) | instskip(NEXT) | instid1(VALU_DEP_1)
	v_fmac_f32_e32 v9, v7, v11
	v_add_f32_e32 v11, v12, v9
	v_frexp_exp_i32_f64_e32 v1, v[1:2]
	s_delay_alu instid0(VALU_DEP_2) | instskip(NEXT) | instid1(VALU_DEP_1)
	v_sub_f32_e32 v12, v11, v12
	v_sub_f32_e32 v2, v9, v12
	v_fma_f32 v12, v10, v6, -v14
	s_delay_alu instid0(VALU_DEP_2) | instskip(NEXT) | instid1(VALU_DEP_2)
	v_add_f32_e32 v2, 0x31739010, v2
	v_dual_add_f32 v13, 0x3f2aaaaa, v11 :: v_dual_fmac_f32 v12, v10, v8
	v_ldexp_f32 v8, v8, 1
	s_delay_alu instid0(VALU_DEP_2) | instskip(NEXT) | instid1(VALU_DEP_1)
	v_dual_add_f32 v9, 0xbf2aaaaa, v13 :: v_dual_fmac_f32 v12, v7, v6
	v_sub_f32_e32 v9, v11, v9
	s_delay_alu instid0(VALU_DEP_1) | instskip(NEXT) | instid1(VALU_DEP_3)
	v_add_f32_e32 v2, v2, v9
	v_add_f32_e32 v9, v14, v12
	s_delay_alu instid0(VALU_DEP_2) | instskip(NEXT) | instid1(VALU_DEP_1)
	v_add_f32_e32 v7, v13, v2
	v_sub_f32_e32 v10, v13, v7
	s_delay_alu instid0(VALU_DEP_3) | instskip(SKIP_2) | instid1(VALU_DEP_4)
	v_mul_f32_e32 v11, v9, v7
	v_sub_f32_e32 v13, v9, v14
	v_subrev_co_ci_u32_e64 v1, s2, 0, v1, s2
	v_add_f32_e32 v2, v2, v10
	s_delay_alu instid0(VALU_DEP_4) | instskip(NEXT) | instid1(VALU_DEP_4)
	v_fma_f32 v10, v9, v7, -v11
	v_sub_f32_e32 v12, v12, v13
	s_delay_alu instid0(VALU_DEP_4) | instskip(NEXT) | instid1(VALU_DEP_3)
	v_cvt_f32_i32_e32 v1, v1
	v_fmac_f32_e32 v10, v9, v2
	v_ldexp_f32 v2, v6, 1
	s_delay_alu instid0(VALU_DEP_2) | instskip(NEXT) | instid1(VALU_DEP_1)
	v_fmac_f32_e32 v10, v12, v7
	v_add_f32_e32 v6, v11, v10
	s_delay_alu instid0(VALU_DEP_1) | instskip(NEXT) | instid1(VALU_DEP_1)
	v_add_f32_e32 v7, v2, v6
	v_dual_sub_f32 v2, v7, v2 :: v_dual_sub_f32 v9, v6, v11
	s_delay_alu instid0(VALU_DEP_1) | instskip(NEXT) | instid1(VALU_DEP_2)
	v_sub_f32_e32 v2, v6, v2
	v_sub_f32_e32 v9, v10, v9
	s_delay_alu instid0(VALU_DEP_1) | instskip(NEXT) | instid1(VALU_DEP_1)
	v_add_f32_e32 v6, v8, v9
	v_dual_mul_f32 v11, 0x3f317218, v1 :: v_dual_add_f32 v2, v6, v2
	s_delay_alu instid0(VALU_DEP_1) | instskip(NEXT) | instid1(VALU_DEP_2)
	v_fma_f32 v10, 0x3f317218, v1, -v11
	v_add_f32_e32 v8, v7, v2
	s_delay_alu instid0(VALU_DEP_1) | instskip(NEXT) | instid1(VALU_DEP_1)
	v_sub_f32_e32 v7, v8, v7
	v_dual_fmamk_f32 v1, v1, 0xb102e308, v10 :: v_dual_sub_f32 v2, v2, v7
	s_delay_alu instid0(VALU_DEP_1) | instskip(NEXT) | instid1(VALU_DEP_1)
	v_add_f32_e32 v6, v11, v1
	v_add_f32_e32 v9, v6, v8
	s_delay_alu instid0(VALU_DEP_1) | instskip(NEXT) | instid1(VALU_DEP_1)
	v_dual_sub_f32 v11, v6, v11 :: v_dual_sub_f32 v10, v9, v6
	v_sub_f32_e32 v12, v9, v10
	s_delay_alu instid0(VALU_DEP_2) | instskip(NEXT) | instid1(VALU_DEP_2)
	v_sub_f32_e32 v1, v1, v11
	v_dual_sub_f32 v7, v8, v10 :: v_dual_sub_f32 v6, v6, v12
	s_delay_alu instid0(VALU_DEP_2) | instskip(NEXT) | instid1(VALU_DEP_2)
	v_add_f32_e32 v8, v1, v2
	v_add_f32_e32 v6, v7, v6
	s_delay_alu instid0(VALU_DEP_1) | instskip(NEXT) | instid1(VALU_DEP_1)
	v_add_f32_e32 v6, v8, v6
	v_dual_sub_f32 v7, v8, v1 :: v_dual_add_f32 v10, v9, v6
	s_delay_alu instid0(VALU_DEP_1) | instskip(SKIP_1) | instid1(VALU_DEP_3)
	v_sub_f32_e32 v8, v8, v7
	v_sub_f32_e32 v2, v2, v7
	;; [unrolled: 1-line block ×3, first 2 shown]
	s_delay_alu instid0(VALU_DEP_3) | instskip(NEXT) | instid1(VALU_DEP_1)
	v_sub_f32_e32 v1, v1, v8
	v_add_f32_e32 v1, v2, v1
	s_delay_alu instid0(VALU_DEP_3) | instskip(NEXT) | instid1(VALU_DEP_1)
	v_sub_f32_e32 v2, v6, v7
	v_add_f32_e32 v1, v1, v2
	s_delay_alu instid0(VALU_DEP_1) | instskip(NEXT) | instid1(VALU_DEP_1)
	v_add_f32_e32 v2, v10, v1
	v_mul_f32_e32 v7, v4, v2
	v_sub_f32_e32 v6, v2, v10
	s_delay_alu instid0(VALU_DEP_2) | instskip(NEXT) | instid1(VALU_DEP_2)
	v_fma_f32 v2, v4, v2, -v7
	v_sub_f32_e32 v1, v1, v6
	v_cmp_class_f32_e64 s2, v7, 0x204
	s_delay_alu instid0(VALU_DEP_2) | instskip(NEXT) | instid1(VALU_DEP_1)
	v_fmac_f32_e32 v2, v4, v1
	v_add_f32_e32 v1, v7, v2
	s_delay_alu instid0(VALU_DEP_1) | instskip(NEXT) | instid1(VALU_DEP_1)
	v_cndmask_b32_e64 v6, v1, v7, s2
	v_cmp_eq_f32_e64 s2, 0x42b17218, v6
	s_delay_alu instid0(VALU_DEP_1) | instskip(SKIP_1) | instid1(VALU_DEP_2)
	v_cndmask_b32_e64 v8, 0, 0x37000000, s2
	v_cmp_neq_f32_e64 s2, 0x7f800000, |v6|
	v_sub_f32_e32 v9, v6, v8
	v_trunc_f32_e32 v6, v4
	s_delay_alu instid0(VALU_DEP_2) | instskip(NEXT) | instid1(VALU_DEP_1)
	v_mul_f32_e32 v10, 0x3fb8aa3b, v9
	v_fma_f32 v11, 0x3fb8aa3b, v9, -v10
	v_rndne_f32_e32 v12, v10
	s_delay_alu instid0(VALU_DEP_1) | instskip(NEXT) | instid1(VALU_DEP_1)
	v_dual_fmamk_f32 v11, v9, 0x32a5705f, v11 :: v_dual_sub_f32 v10, v10, v12
	v_add_f32_e32 v10, v10, v11
	v_sub_f32_e32 v1, v1, v7
	v_cvt_i32_f32_e32 v7, v12
	s_delay_alu instid0(VALU_DEP_3) | instskip(NEXT) | instid1(VALU_DEP_2)
	v_exp_f32_e32 v10, v10
	v_sub_f32_e32 v1, v2, v1
	s_delay_alu instid0(VALU_DEP_1)
	v_cndmask_b32_e64 v1, 0, v1, s2
	v_cmp_ngt_f32_e64 s2, 0xc2ce8ed0, v9
	s_waitcnt_depctr 0xfff
	v_ldexp_f32 v2, v10, v7
	v_mul_f32_e32 v7, 0.5, v4
	v_add_f32_e32 v1, v8, v1
	s_delay_alu instid0(VALU_DEP_3) | instskip(NEXT) | instid1(VALU_DEP_3)
	v_cndmask_b32_e64 v2, 0, v2, s2
	v_trunc_f32_e32 v10, v7
	v_cmp_nlt_f32_e64 s2, 0x42b17218, v9
	s_delay_alu instid0(VALU_DEP_2) | instskip(NEXT) | instid1(VALU_DEP_2)
	v_cmp_neq_f32_e64 s3, v10, v7
	v_cndmask_b32_e64 v2, 0x7f800000, v2, s2
	v_cmp_eq_f32_e64 s2, v6, v4
	s_delay_alu instid0(VALU_DEP_2) | instskip(NEXT) | instid1(VALU_DEP_2)
	v_fma_f32 v1, v2, v1, v2
	s_and_b32 vcc_lo, s2, s3
	v_cmp_class_f32_e64 s3, v2, 0x204
	v_cndmask_b32_e32 v6, 1.0, v3, vcc_lo
	s_delay_alu instid0(VALU_DEP_2) | instskip(SKIP_1) | instid1(VALU_DEP_2)
	v_cndmask_b32_e64 v1, v1, v2, s3
	v_cmp_gt_f32_e64 s3, 0, v4
	v_bfi_b32 v1, 0x7fffffff, v1, v6
	s_delay_alu instid0(VALU_DEP_2)
	s_xor_b32 s3, s3, s4
	v_cndmask_b32_e32 v6, 0, v3, vcc_lo
	v_cndmask_b32_e64 v2, 0x7f800000, 0, s3
	v_cmp_eq_f32_e32 vcc_lo, 0x7f800000, v5
	v_cndmask_b32_e64 v4, 0x7fc00000, v1, s2
	v_cmp_gt_f32_e64 s2, 0, v3
	s_delay_alu instid0(VALU_DEP_4) | instskip(SKIP_1) | instid1(VALU_DEP_2)
	v_bfi_b32 v2, 0x7fffffff, v2, v6
	s_or_b32 vcc_lo, vcc_lo, s4
	v_cndmask_b32_e64 v1, v1, v4, s2
	s_delay_alu instid0(VALU_DEP_1) | instskip(SKIP_1) | instid1(VALU_DEP_2)
	v_cndmask_b32_e32 v1, v1, v2, vcc_lo
	v_cmp_o_f32_e32 vcc_lo, v3, v3
	v_cndmask_b32_e32 v24, 0x7fc00000, v1, vcc_lo
.LBB14_2:
	s_clause 0x1
	s_load_b128 s[44:47], s[0:1], 0x70
	s_load_b512 s[16:31], s[0:1], 0x0
	v_and_b32_e32 v21, 0x3ff, v0
	s_delay_alu instid0(VALU_DEP_1) | instskip(NEXT) | instid1(VALU_DEP_1)
	v_lshlrev_b32_e32 v19, 2, v21
	v_and_b32_e32 v20, 28, v19
	s_delay_alu instid0(VALU_DEP_1)
	v_lshlrev_b32_e32 v5, 3, v20
	s_waitcnt lgkmcnt(0)
	s_mul_i32 s2, s12, s46
	s_mul_i32 s3, s13, s44
	;; [unrolled: 1-line block ×3, first 2 shown]
	s_add_i32 s2, s2, s3
	s_delay_alu instid0(SALU_CYCLE_1) | instskip(NEXT) | instid1(SALU_CYCLE_1)
	s_add_i32 s2, s2, s4
	s_ashr_i32 s3, s2, 31
	s_add_u32 s2, s16, s2
	s_addc_u32 s3, s17, s3
	s_clause 0x3
	global_load_b128 v[9:12], v5, s[2:3] offset:16
	global_load_b128 v[13:16], v5, s[2:3]
	global_load_b128 v[1:4], v5, s[2:3] offset:272
	global_load_b128 v[5:8], v5, s[2:3] offset:256
	s_cmp_eq_u64 s[26:27], 0
	s_cbranch_scc1 .LBB14_4
; %bb.3:
	s_load_b32 s2, s[0:1], 0xd0
	s_mov_b32 s3, 0
	s_waitcnt lgkmcnt(0)
	s_mul_i32 s2, s2, s12
	s_delay_alu instid0(SALU_CYCLE_1) | instskip(NEXT) | instid1(SALU_CYCLE_1)
	s_add_i32 s2, s2, s13
	s_lshl_b64 s[2:3], s[2:3], 2
	s_delay_alu instid0(SALU_CYCLE_1)
	s_add_u32 s2, s26, s2
	s_addc_u32 s3, s27, s3
	s_load_b32 s42, s[2:3], 0x0
.LBB14_4:
	v_bfe_u32 v22, v0, 10, 10
	v_mbcnt_lo_u32_b32 v23, -1, 0
	s_lshl_b32 s16, s14, 7
	s_mov_b32 s17, 0
	s_waitcnt lgkmcnt(0)
	s_cmp_ge_i32 s16, s42
	v_lshlrev_b32_e32 v0, 5, v22
	s_delay_alu instid0(VALU_DEP_1) | instskip(NEXT) | instid1(VALU_DEP_1)
	v_dual_mov_b32 v32, 0 :: v_dual_add_nc_u32 v17, v0, v21
	v_lshlrev_b32_e32 v18, 1, v17
	s_cbranch_scc1 .LBB14_24
; %bb.5:
	s_sub_i32 s2, 0, s6
	s_sub_i32 s3, 0, s15
	s_mul_i32 s2, s2, s9
	s_mul_i32 s3, s3, s8
	s_mul_hi_u32 s2, s9, s2
	s_mul_hi_u32 s3, s8, s3
	s_abs_i32 s4, s40
	s_add_i32 s9, s9, s2
	s_abs_i32 s26, s12
	s_add_i32 s8, s8, s3
	s_mul_hi_u32 s27, s4, s9
	s_mul_hi_u32 s41, s26, s8
	s_clause 0x1
	s_load_b64 s[38:39], s[0:1], 0x8c
	s_load_b128 s[8:11], s[0:1], 0x98
	s_waitcnt vmcnt(2)
	v_cvt_f16_f32_e32 v13, v13
	v_cvt_f16_f32_e32 v14, v14
	;; [unrolled: 1-line block ×6, first 2 shown]
	s_waitcnt vmcnt(0)
	v_cvt_f16_f32_e32 v5, v5
	v_cvt_f16_f32_e32 v6, v6
	;; [unrolled: 1-line block ×9, first 2 shown]
	v_pack_b32_f16 v13, v13, v14
	v_pack_b32_f16 v9, v9, v10
	;; [unrolled: 1-line block ×6, first 2 shown]
	v_cvt_f16_f32_e32 v2, v3
	v_cvt_f16_f32_e32 v3, v4
	v_pack_b32_f16 v14, v15, v16
	v_pk_mul_f16 v8, v25, v9 op_sel_hi:[0,1]
	v_pk_mul_f16 v9, v25, v10 op_sel_hi:[0,1]
	;; [unrolled: 1-line block ×3, first 2 shown]
	v_pack_b32_f16 v2, v2, v3
	v_pk_mul_f16 v3, v25, v13 op_sel_hi:[0,1]
	v_pk_mul_f16 v13, v25, v6 op_sel_hi:[0,1]
	;; [unrolled: 1-line block ×4, first 2 shown]
	v_lshrrev_b32_e32 v10, 16, v8
	v_lshrrev_b32_e32 v5, 16, v3
	;; [unrolled: 1-line block ×5, first 2 shown]
	v_xor_b32_e32 v28, 2, v23
	v_and_b32_e32 v27, 24, v23
	v_xor_b32_e32 v38, 16, v23
	v_and_b32_e32 v4, 0x78, v21
	s_ashr_i32 s43, s12, 31
	s_waitcnt lgkmcnt(0)
	s_mul_i32 s2, s12, s9
	s_mul_hi_u32 s3, s12, s8
	v_lshrrev_b32_e32 v6, 16, v7
	s_add_i32 s33, s3, s2
	s_mul_i32 s2, s43, s8
	v_lshrrev_b32_e32 v16, 16, v1
	v_xor_b32_e32 v29, 1, v23
	v_add_nc_u32_e32 v26, v0, v4
	v_cvt_f32_f16_e32 v4, v5
	v_cvt_f32_f16_e32 v5, v7
	;; [unrolled: 1-line block ×8, first 2 shown]
	v_add_nc_u32_e32 v1, 8, v27
	v_xor_b32_e32 v27, 4, v23
	s_add_i32 s33, s33, s2
	s_load_b64 s[2:3], s[0:1], 0xa8
	s_mul_i32 s9, s27, s6
	s_ashr_i32 s37, s40, 31
	v_cmp_lt_i32_e32 vcc_lo, v27, v1
	s_ashr_i32 s7, s7, 31
	s_sub_i32 s4, s4, s9
	v_pk_mul_f16 v2, v25, v2 op_sel_hi:[0,1]
	s_xor_b32 s7, s37, s7
	s_add_i32 s9, s27, 1
	s_sub_i32 s36, s4, s6
	v_cndmask_b32_e32 v30, v23, v27, vcc_lo
	v_cmp_lt_i32_e32 vcc_lo, v28, v1
	s_cmp_ge_u32 s4, s6
	v_cvt_f32_f16_e32 v25, v2
	s_cselect_b32 s9, s9, s27
	v_lshrrev_b32_e32 v2, 16, v2
	s_cselect_b32 s4, s36, s4
	s_add_i32 s27, s9, 1
	v_cndmask_b32_e32 v32, v23, v28, vcc_lo
	v_cmp_lt_i32_e32 vcc_lo, v29, v1
	s_cmp_ge_u32 s4, s6
	v_cvt_f32_f16_e32 v27, v2
	s_cselect_b32 s4, s27, s9
	v_xor_b32_e32 v2, 8, v23
	s_xor_b32 s4, s4, s7
	v_cndmask_b32_e32 v1, v23, v29, vcc_lo
	v_lshlrev_b32_e32 v29, 2, v32
	v_mul_lo_u32 v31, v26, s38
	s_sub_i32 s4, s4, s7
	s_waitcnt lgkmcnt(0)
	s_mul_i32 s3, s12, s3
	s_mul_hi_u32 s27, s12, s2
	s_clause 0x1
	s_load_b64 s[6:7], s[0:1], 0xc8
	s_load_b32 s9, s[0:1], 0xd4
	v_cmp_gt_i32_e32 vcc_lo, 32, v2
	s_mul_i32 s36, s4, s39
	s_add_i32 s39, s27, s3
	s_mul_i32 s3, s43, s2
	s_mul_i32 s41, s41, s15
	s_add_i32 s39, s39, s3
	s_mul_i32 s44, s4, s11
	s_sub_i32 s3, s26, s41
	s_ashr_i32 s37, s36, 31
	s_ashr_i32 s41, s44, 31
	s_sub_i32 s4, s3, s15
	v_dual_cndmask_b32 v2, v23, v2 :: v_dual_add_nc_u32 v33, s38, v31
	v_cmp_gt_i32_e32 vcc_lo, 32, v38
	s_cmp_ge_u32 s3, s15
	s_mul_i32 s47, s13, s5
	s_cselect_b32 s3, s4, s3
	s_mul_i32 s50, s16, s38
	s_sub_i32 s4, s3, s15
	v_cndmask_b32_e32 v39, v23, v38, vcc_lo
	v_lshlrev_b32_e32 v38, 2, v2
	v_mov_b32_e32 v2, 0
	v_add_nc_u32_e32 v32, s38, v33
	s_cmp_ge_u32 s3, s15
	s_mul_i32 s15, s12, s8
	s_cselect_b32 s3, s4, s3
	s_ashr_i32 s48, s47, 31
	s_xor_b32 s3, s3, s43
	v_add_nc_u32_e32 v35, s38, v32
	s_sub_i32 s3, s3, s43
	v_dual_mov_b32 v75, 0xfeffffff :: v_dual_lshlrev_b32 v28, 2, v30
	s_waitcnt lgkmcnt(0)
	s_mul_i32 s4, s3, s7
	s_mul_hi_u32 s7, s3, s6
	s_ashr_i32 s8, s3, 31
	v_add_nc_u32_e32 v37, s38, v35
	s_add_i32 s4, s7, s4
	s_mul_i32 s8, s8, s6
	v_lshlrev_b32_e32 v30, 2, v1
	s_add_i32 s45, s4, s8
	s_cmp_lg_u64 s[22:23], 0
	v_add_nc_u32_e32 v54, s38, v37
	s_cselect_b32 s11, -1, 0
	s_lshl_b32 s26, s9, 7
	v_and_b32_e32 v1, 7, v21
	v_lshrrev_b32_e32 v34, 3, v21
	s_add_u32 s50, s18, s50
	s_addc_u32 s51, s19, 0
	s_add_u32 s18, s50, s36
	v_add_nc_u32_e32 v48, s38, v54
	s_addc_u32 s19, s51, s37
	s_add_u32 s52, s18, s15
	s_mul_i32 s43, s12, s2
	s_mul_i32 s46, s3, s6
	v_cmp_eq_u32_e64 s2, 7, v1
	v_cmp_eq_u32_e64 s3, 0, v1
	;; [unrolled: 1-line block ×8, first 2 shown]
	v_lshlrev_b32_e32 v41, 4, v1
	s_addc_u32 s53, s19, s33
	s_lshl_b64 s[18:19], s[16:17], 1
	v_lshlrev_b32_e32 v1, 1, v26
	v_add_nc_u32_e32 v26, v34, v0
	s_mov_b32 s27, s17
	s_add_u32 s17, s46, s18
	v_add_nc_u32_e32 v42, s38, v48
	s_addc_u32 s18, s45, s19
	s_add_u32 s19, s22, s47
	s_addc_u32 s22, s23, s48
	v_add_nc_u32_e32 v44, 4, v26
	s_add_u32 s17, s19, s17
	v_or_b32_e32 v40, v0, v34
	v_mul_lo_u32 v34, s10, v26
	v_ashrrev_i32_e32 v43, 31, v42
	s_addc_u32 s18, s22, s18
	v_add_co_u32 v0, s17, s17, v1
	s_delay_alu instid0(VALU_DEP_1)
	v_add_co_ci_u32_e64 v1, null, s18, 0, s17
	s_lshl_b64 s[18:19], s[26:27], 1
	v_mul_lo_u32 v46, s10, v44
	s_mul_i32 s49, s16, s10
	v_add_co_u32 v42, vcc_lo, s52, v42
	s_add_u32 s17, s43, s44
	s_addc_u32 s22, s39, s41
	v_add_nc_u32_e32 v47, 8, v26
	v_add_co_ci_u32_e32 v43, vcc_lo, s53, v43, vcc_lo
	s_add_u32 s20, s20, s49
	v_add_co_u32 v0, vcc_lo, v0, 14
	s_addc_u32 s21, s21, 0
	v_ashrrev_i32_e32 v45, 31, v34
	s_add_u32 s17, s20, s17
	v_add_co_ci_u32_e32 v1, vcc_lo, 0, v1, vcc_lo
	s_addc_u32 s22, s21, s22
	v_add_co_u32 v44, vcc_lo, s17, v34
	s_add_u32 s17, s20, s44
	v_mul_lo_u32 v50, s10, v47
	v_ashrrev_i32_e32 v34, 31, v46
	s_addc_u32 s20, s21, s41
	v_add_nc_u32_e32 v51, 12, v26
	s_add_u32 s17, s17, s43
	v_add_co_ci_u32_e32 v45, vcc_lo, s22, v45, vcc_lo
	s_addc_u32 s20, s20, s39
	v_add_co_u32 v46, vcc_lo, s17, v46
	v_ashrrev_i32_e32 v49, 31, v48
	v_add_co_ci_u32_e32 v47, vcc_lo, s20, v34, vcc_lo
	v_mul_lo_u32 v34, s10, v51
	v_add_co_u32 v48, vcc_lo, s52, v48
	v_ashrrev_i32_e32 v51, 31, v50
	v_add_nc_u32_e32 v52, 16, v26
	v_add_co_ci_u32_e32 v49, vcc_lo, s53, v49, vcc_lo
	v_add_co_u32 v50, vcc_lo, s17, v50
	s_delay_alu instid0(VALU_DEP_4)
	v_add_co_ci_u32_e32 v51, vcc_lo, s20, v51, vcc_lo
	v_ashrrev_i32_e32 v53, 31, v34
	v_mul_lo_u32 v56, s10, v52
	v_add_co_u32 v52, vcc_lo, s17, v34
	v_add_nc_u32_e32 v34, 20, v26
	v_add_nc_u32_e32 v58, 24, v26
	v_ashrrev_i32_e32 v55, 31, v54
	v_add_co_ci_u32_e32 v53, vcc_lo, s20, v53, vcc_lo
	s_delay_alu instid0(VALU_DEP_4)
	v_mul_lo_u32 v34, s10, v34
	v_add_nc_u32_e32 v26, 28, v26
	v_add_co_u32 v54, vcc_lo, s52, v54
	v_ashrrev_i32_e32 v57, 31, v56
	v_mul_lo_u32 v62, s10, v58
	v_add_co_ci_u32_e32 v55, vcc_lo, s53, v55, vcc_lo
	v_add_co_u32 v56, vcc_lo, s17, v56
	v_ashrrev_i32_e32 v59, 31, v34
	v_mul_lo_u32 v26, s10, v26
	v_add_co_ci_u32_e32 v57, vcc_lo, s20, v57, vcc_lo
	v_ashrrev_i32_e32 v61, 31, v37
	v_add_co_u32 v58, vcc_lo, s17, v34
	v_add_co_ci_u32_e32 v59, vcc_lo, s20, v59, vcc_lo
	v_add_co_u32 v60, vcc_lo, s52, v37
	v_ashrrev_i32_e32 v34, 31, v62
	v_add_co_ci_u32_e32 v61, vcc_lo, s53, v61, vcc_lo
	v_ashrrev_i32_e32 v37, 31, v26
	v_add_co_u32 v62, vcc_lo, s17, v62
	s_delay_alu instid0(VALU_DEP_4)
	v_add_co_ci_u32_e32 v63, vcc_lo, s20, v34, vcc_lo
	s_add_u32 s15, s15, s36
	v_ashrrev_i32_e32 v36, 31, v31
	v_add_co_u32 v64, vcc_lo, s17, v26
	s_addc_u32 s17, s33, s37
	s_add_u32 s15, s50, s15
	v_add_co_ci_u32_e32 v65, vcc_lo, s20, v37, vcc_lo
	v_mov_b32_e32 v37, 0
	s_addc_u32 s17, s51, s17
	v_add_co_u32 v66, vcc_lo, s15, v31
	v_add_co_ci_u32_e32 v67, vcc_lo, s17, v36, vcc_lo
	v_mov_b32_e32 v36, 0
	v_ashrrev_i32_e32 v69, 31, v35
	v_ashrrev_i32_e32 v71, 31, v33
	v_add_co_u32 v68, vcc_lo, s52, v35
	v_cvt_f32_f16_e32 v3, v3
	s_delay_alu instid0(VALU_DEP_4)
	v_add_co_ci_u32_e32 v69, vcc_lo, s53, v69, vcc_lo
	v_add_co_u32 v70, vcc_lo, s52, v33
	v_mov_b32_e32 v33, 0
	v_ashrrev_i32_e32 v73, 31, v32
	v_add_co_ci_u32_e32 v71, vcc_lo, s53, v71, vcc_lo
	v_add_co_u32 v72, vcc_lo, s52, v32
	v_cvt_f32_f16_e32 v6, v6
	v_cvt_f32_f16_e32 v9, v9
	v_cvt_f32_f16_e32 v11, v11
	v_cvt_f32_f16_e32 v13, v13
	v_cvt_f32_f16_e32 v16, v16
	v_dual_mov_b32 v26, 0 :: v_dual_lshlrev_b32 v39, 2, v39
	v_lshlrev_b32_e32 v40, 1, v40
	v_add_co_ci_u32_e32 v73, vcc_lo, s53, v73, vcc_lo
	v_dual_mov_b32 v31, 0 :: v_dual_mov_b32 v34, 0
	v_dual_mov_b32 v35, 0 :: v_dual_mov_b32 v32, 0
	s_mul_i32 s15, s26, s38
	s_mul_i32 s10, s26, s10
                                        ; implicit-def: $vgpr74
.LBB14_6:                               ; =>This Inner Loop Header: Depth=1
	v_add_co_u32 v80, vcc_lo, v66, v41
	v_add_co_ci_u32_e32 v81, vcc_lo, 0, v67, vcc_lo
	s_and_b32 vcc_lo, exec_lo, s11
	s_clause 0x1
	global_load_b128 v[76:79], v[80:81], off
	global_load_b128 v[80:83], v[80:81], off offset:128
	s_waitcnt vmcnt(1)
	v_lshlrev_b32_e32 v84, 16, v76
	v_and_b32_e32 v76, 0xffff0000, v76
	s_delay_alu instid0(VALU_DEP_2) | instskip(NEXT) | instid1(VALU_DEP_1)
	v_fma_f32 v84, v84, v3, 0
	v_dual_fmac_f32 v84, v76, v4 :: v_dual_lshlrev_b32 v85, 16, v77
	v_and_b32_e32 v76, 0xffff0000, v77
	s_delay_alu instid0(VALU_DEP_2) | instskip(NEXT) | instid1(VALU_DEP_1)
	v_dual_fmac_f32 v84, v85, v5 :: v_dual_lshlrev_b32 v77, 16, v78
	v_fmac_f32_e32 v84, v76, v6
	v_and_b32_e32 v76, 0xffff0000, v78
	s_delay_alu instid0(VALU_DEP_2) | instskip(NEXT) | instid1(VALU_DEP_1)
	v_fmac_f32_e32 v84, v77, v7
	v_dual_fmac_f32 v84, v76, v8 :: v_dual_lshlrev_b32 v77, 16, v79
	v_and_b32_e32 v76, 0xffff0000, v79
	s_waitcnt vmcnt(0)
	s_delay_alu instid0(VALU_DEP_2) | instskip(NEXT) | instid1(VALU_DEP_1)
	v_dual_fmac_f32 v84, v9, v77 :: v_dual_lshlrev_b32 v77, 16, v80
	v_fmac_f32_e32 v84, v10, v76
	v_and_b32_e32 v76, 0xffff0000, v80
	s_delay_alu instid0(VALU_DEP_2) | instskip(NEXT) | instid1(VALU_DEP_1)
	v_fmac_f32_e32 v84, v11, v77
	v_dual_fmac_f32 v84, v12, v76 :: v_dual_lshlrev_b32 v77, 16, v81
	v_and_b32_e32 v76, 0xffff0000, v81
	s_delay_alu instid0(VALU_DEP_2) | instskip(NEXT) | instid1(VALU_DEP_1)
	v_dual_fmac_f32 v84, v13, v77 :: v_dual_lshlrev_b32 v77, 16, v82
	v_fmac_f32_e32 v84, v14, v76
	v_and_b32_e32 v76, 0xffff0000, v82
	s_delay_alu instid0(VALU_DEP_2) | instskip(NEXT) | instid1(VALU_DEP_1)
	v_dual_fmac_f32 v84, v15, v77 :: v_dual_lshlrev_b32 v77, 16, v83
	v_fmac_f32_e32 v84, v16, v76
	v_and_b32_e32 v76, 0xffff0000, v83
	s_delay_alu instid0(VALU_DEP_2) | instskip(NEXT) | instid1(VALU_DEP_1)
	v_fmac_f32_e32 v84, v25, v77
	v_fmac_f32_e32 v84, v27, v76
	ds_bpermute_b32 v76, v28, v84
	s_waitcnt lgkmcnt(0)
	v_add_f32_e32 v76, v84, v76
	ds_bpermute_b32 v77, v29, v76
	s_waitcnt lgkmcnt(0)
	v_add_f32_e32 v76, v76, v77
	;; [unrolled: 3-line block ×3, first 2 shown]
	s_cbranch_vccz .LBB14_8
; %bb.7:                                ;   in Loop: Header=BB14_6 Depth=1
	global_load_u16 v77, v[0:1], off offset:-14
	s_waitcnt vmcnt(0)
	v_fma_mix_f32 v76, v24, v77, v76 op_sel_hi:[0,1,0]
.LBB14_8:                               ;   in Loop: Header=BB14_6 Depth=1
	v_add_co_u32 v81, vcc_lo, v70, v41
	v_add_co_ci_u32_e32 v82, vcc_lo, 0, v71, vcc_lo
	s_and_not1_b32 vcc_lo, exec_lo, s11
	s_clause 0x1
	global_load_b128 v[77:80], v[81:82], off
	global_load_b128 v[81:84], v[81:82], off offset:128
	s_waitcnt vmcnt(1)
	v_lshlrev_b32_e32 v85, 16, v77
	v_and_b32_e32 v77, 0xffff0000, v77
	s_delay_alu instid0(VALU_DEP_2) | instskip(NEXT) | instid1(VALU_DEP_1)
	v_fma_f32 v85, v85, v3, 0
	v_dual_fmac_f32 v85, v77, v4 :: v_dual_lshlrev_b32 v86, 16, v78
	v_and_b32_e32 v77, 0xffff0000, v78
	s_delay_alu instid0(VALU_DEP_2) | instskip(NEXT) | instid1(VALU_DEP_1)
	v_dual_fmac_f32 v85, v86, v5 :: v_dual_lshlrev_b32 v78, 16, v79
	v_fmac_f32_e32 v85, v77, v6
	v_and_b32_e32 v77, 0xffff0000, v79
	s_delay_alu instid0(VALU_DEP_2) | instskip(NEXT) | instid1(VALU_DEP_1)
	v_dual_fmac_f32 v85, v78, v7 :: v_dual_lshlrev_b32 v78, 16, v80
	v_fmac_f32_e32 v85, v77, v8
	v_and_b32_e32 v77, 0xffff0000, v80
	s_waitcnt vmcnt(0)
	s_delay_alu instid0(VALU_DEP_2) | instskip(NEXT) | instid1(VALU_DEP_1)
	v_dual_fmac_f32 v85, v9, v78 :: v_dual_lshlrev_b32 v78, 16, v81
	v_fmac_f32_e32 v85, v10, v77
	v_and_b32_e32 v77, 0xffff0000, v81
	s_delay_alu instid0(VALU_DEP_2) | instskip(NEXT) | instid1(VALU_DEP_1)
	v_fmac_f32_e32 v85, v11, v78
	v_dual_fmac_f32 v85, v12, v77 :: v_dual_lshlrev_b32 v78, 16, v82
	v_and_b32_e32 v77, 0xffff0000, v82
	s_delay_alu instid0(VALU_DEP_2) | instskip(NEXT) | instid1(VALU_DEP_1)
	v_dual_fmac_f32 v85, v13, v78 :: v_dual_lshlrev_b32 v78, 16, v83
	v_fmac_f32_e32 v85, v14, v77
	v_and_b32_e32 v77, 0xffff0000, v83
	s_delay_alu instid0(VALU_DEP_2) | instskip(NEXT) | instid1(VALU_DEP_1)
	v_dual_fmac_f32 v85, v15, v78 :: v_dual_and_b32 v78, 0xffff0000, v84
	v_fmac_f32_e32 v85, v16, v77
	v_lshlrev_b32_e32 v77, 16, v84
	s_delay_alu instid0(VALU_DEP_1) | instskip(NEXT) | instid1(VALU_DEP_1)
	v_fmac_f32_e32 v85, v25, v77
	v_fmac_f32_e32 v85, v27, v78
	ds_bpermute_b32 v77, v28, v85
	s_waitcnt lgkmcnt(0)
	v_add_f32_e32 v77, v85, v77
	ds_bpermute_b32 v78, v29, v77
	s_waitcnt lgkmcnt(0)
	v_add_f32_e32 v77, v77, v78
	;; [unrolled: 3-line block ×3, first 2 shown]
	s_cbranch_vccnz .LBB14_10
; %bb.9:                                ;   in Loop: Header=BB14_6 Depth=1
	global_load_u16 v78, v[0:1], off offset:-12
	s_waitcnt vmcnt(0)
	v_fma_mix_f32 v77, v24, v78, v77 op_sel_hi:[0,1,0]
.LBB14_10:                              ;   in Loop: Header=BB14_6 Depth=1
	v_add_co_u32 v82, vcc_lo, v72, v41
	v_add_co_ci_u32_e32 v83, vcc_lo, 0, v73, vcc_lo
	s_and_not1_b32 vcc_lo, exec_lo, s11
	s_clause 0x1
	global_load_b128 v[78:81], v[82:83], off
	global_load_b128 v[82:85], v[82:83], off offset:128
	s_waitcnt vmcnt(1)
	v_lshlrev_b32_e32 v86, 16, v78
	v_and_b32_e32 v78, 0xffff0000, v78
	s_delay_alu instid0(VALU_DEP_2) | instskip(NEXT) | instid1(VALU_DEP_1)
	v_fma_f32 v86, v86, v3, 0
	v_dual_fmac_f32 v86, v78, v4 :: v_dual_lshlrev_b32 v87, 16, v79
	v_and_b32_e32 v78, 0xffff0000, v79
	s_delay_alu instid0(VALU_DEP_2) | instskip(NEXT) | instid1(VALU_DEP_1)
	v_dual_fmac_f32 v86, v87, v5 :: v_dual_lshlrev_b32 v79, 16, v80
	v_fmac_f32_e32 v86, v78, v6
	v_and_b32_e32 v78, 0xffff0000, v80
	s_delay_alu instid0(VALU_DEP_2) | instskip(NEXT) | instid1(VALU_DEP_1)
	v_dual_fmac_f32 v86, v79, v7 :: v_dual_lshlrev_b32 v79, 16, v81
	v_fmac_f32_e32 v86, v78, v8
	v_and_b32_e32 v78, 0xffff0000, v81
	s_waitcnt vmcnt(0)
	s_delay_alu instid0(VALU_DEP_2) | instskip(NEXT) | instid1(VALU_DEP_1)
	v_dual_fmac_f32 v86, v9, v79 :: v_dual_lshlrev_b32 v79, 16, v82
	v_fmac_f32_e32 v86, v10, v78
	v_and_b32_e32 v78, 0xffff0000, v82
	s_delay_alu instid0(VALU_DEP_2) | instskip(NEXT) | instid1(VALU_DEP_1)
	v_fmac_f32_e32 v86, v11, v79
	v_dual_fmac_f32 v86, v12, v78 :: v_dual_lshlrev_b32 v79, 16, v83
	v_and_b32_e32 v78, 0xffff0000, v83
	s_delay_alu instid0(VALU_DEP_2) | instskip(NEXT) | instid1(VALU_DEP_1)
	v_dual_fmac_f32 v86, v13, v79 :: v_dual_lshlrev_b32 v79, 16, v84
	v_fmac_f32_e32 v86, v14, v78
	v_and_b32_e32 v78, 0xffff0000, v84
	s_delay_alu instid0(VALU_DEP_2) | instskip(NEXT) | instid1(VALU_DEP_1)
	v_dual_fmac_f32 v86, v15, v79 :: v_dual_and_b32 v79, 0xffff0000, v85
	v_fmac_f32_e32 v86, v16, v78
	v_lshlrev_b32_e32 v78, 16, v85
	s_delay_alu instid0(VALU_DEP_1) | instskip(NEXT) | instid1(VALU_DEP_1)
	v_fmac_f32_e32 v86, v25, v78
	v_fmac_f32_e32 v86, v27, v79
	ds_bpermute_b32 v78, v28, v86
	s_waitcnt lgkmcnt(0)
	v_add_f32_e32 v78, v86, v78
	ds_bpermute_b32 v79, v29, v78
	s_waitcnt lgkmcnt(0)
	v_add_f32_e32 v78, v78, v79
	;; [unrolled: 3-line block ×3, first 2 shown]
	s_cbranch_vccnz .LBB14_12
; %bb.11:                               ;   in Loop: Header=BB14_6 Depth=1
	global_load_u16 v79, v[0:1], off offset:-10
	s_waitcnt vmcnt(0)
	v_fma_mix_f32 v78, v24, v79, v78 op_sel_hi:[0,1,0]
.LBB14_12:                              ;   in Loop: Header=BB14_6 Depth=1
	v_add_co_u32 v83, vcc_lo, v68, v41
	v_add_co_ci_u32_e32 v84, vcc_lo, 0, v69, vcc_lo
	s_and_not1_b32 vcc_lo, exec_lo, s11
	s_clause 0x1
	global_load_b128 v[79:82], v[83:84], off
	global_load_b128 v[83:86], v[83:84], off offset:128
	s_waitcnt vmcnt(1)
	v_lshlrev_b32_e32 v87, 16, v79
	v_and_b32_e32 v79, 0xffff0000, v79
	s_delay_alu instid0(VALU_DEP_2) | instskip(NEXT) | instid1(VALU_DEP_1)
	v_fma_f32 v87, v87, v3, 0
	v_fmac_f32_e32 v87, v79, v4
	v_and_b32_e32 v79, 0xffff0000, v80
	v_lshlrev_b32_e32 v88, 16, v80
	v_lshlrev_b32_e32 v80, 16, v81
	s_delay_alu instid0(VALU_DEP_2) | instskip(NEXT) | instid1(VALU_DEP_1)
	v_fmac_f32_e32 v87, v88, v5
	v_fmac_f32_e32 v87, v79, v6
	v_and_b32_e32 v79, 0xffff0000, v81
	s_delay_alu instid0(VALU_DEP_2) | instskip(NEXT) | instid1(VALU_DEP_1)
	v_dual_fmac_f32 v87, v80, v7 :: v_dual_lshlrev_b32 v80, 16, v82
	v_fmac_f32_e32 v87, v79, v8
	v_and_b32_e32 v79, 0xffff0000, v82
	s_waitcnt vmcnt(0)
	s_delay_alu instid0(VALU_DEP_2) | instskip(NEXT) | instid1(VALU_DEP_1)
	v_dual_fmac_f32 v87, v9, v80 :: v_dual_lshlrev_b32 v80, 16, v83
	v_fmac_f32_e32 v87, v10, v79
	v_and_b32_e32 v79, 0xffff0000, v83
	s_delay_alu instid0(VALU_DEP_2) | instskip(NEXT) | instid1(VALU_DEP_1)
	v_fmac_f32_e32 v87, v11, v80
	v_dual_fmac_f32 v87, v12, v79 :: v_dual_lshlrev_b32 v80, 16, v84
	v_and_b32_e32 v79, 0xffff0000, v84
	s_delay_alu instid0(VALU_DEP_2) | instskip(NEXT) | instid1(VALU_DEP_1)
	v_dual_fmac_f32 v87, v13, v80 :: v_dual_lshlrev_b32 v80, 16, v85
	v_fmac_f32_e32 v87, v14, v79
	v_and_b32_e32 v79, 0xffff0000, v85
	s_delay_alu instid0(VALU_DEP_2) | instskip(NEXT) | instid1(VALU_DEP_1)
	v_dual_fmac_f32 v87, v15, v80 :: v_dual_and_b32 v80, 0xffff0000, v86
	v_fmac_f32_e32 v87, v16, v79
	v_lshlrev_b32_e32 v79, 16, v86
	s_delay_alu instid0(VALU_DEP_1) | instskip(NEXT) | instid1(VALU_DEP_1)
	v_fmac_f32_e32 v87, v25, v79
	v_fmac_f32_e32 v87, v27, v80
	ds_bpermute_b32 v79, v28, v87
	s_waitcnt lgkmcnt(0)
	v_add_f32_e32 v79, v87, v79
	ds_bpermute_b32 v80, v29, v79
	s_waitcnt lgkmcnt(0)
	v_add_f32_e32 v79, v79, v80
	;; [unrolled: 3-line block ×3, first 2 shown]
	s_cbranch_vccnz .LBB14_14
; %bb.13:                               ;   in Loop: Header=BB14_6 Depth=1
	global_load_u16 v80, v[0:1], off offset:-8
	s_waitcnt vmcnt(0)
	v_fma_mix_f32 v79, v24, v80, v79 op_sel_hi:[0,1,0]
.LBB14_14:                              ;   in Loop: Header=BB14_6 Depth=1
	v_add_co_u32 v84, vcc_lo, v60, v41
	v_add_co_ci_u32_e32 v85, vcc_lo, 0, v61, vcc_lo
	s_and_not1_b32 vcc_lo, exec_lo, s11
	s_clause 0x1
	global_load_b128 v[80:83], v[84:85], off
	global_load_b128 v[84:87], v[84:85], off offset:128
	s_waitcnt vmcnt(1)
	v_lshlrev_b32_e32 v88, 16, v80
	v_and_b32_e32 v80, 0xffff0000, v80
	s_delay_alu instid0(VALU_DEP_2) | instskip(NEXT) | instid1(VALU_DEP_1)
	v_fma_f32 v88, v88, v3, 0
	v_dual_fmac_f32 v88, v80, v4 :: v_dual_lshlrev_b32 v89, 16, v81
	v_and_b32_e32 v80, 0xffff0000, v81
	s_delay_alu instid0(VALU_DEP_2) | instskip(NEXT) | instid1(VALU_DEP_1)
	v_dual_fmac_f32 v88, v89, v5 :: v_dual_lshlrev_b32 v81, 16, v82
	v_fmac_f32_e32 v88, v80, v6
	v_and_b32_e32 v80, 0xffff0000, v82
	s_delay_alu instid0(VALU_DEP_2) | instskip(NEXT) | instid1(VALU_DEP_1)
	v_fmac_f32_e32 v88, v81, v7
	v_dual_fmac_f32 v88, v80, v8 :: v_dual_lshlrev_b32 v81, 16, v83
	v_and_b32_e32 v80, 0xffff0000, v83
	s_waitcnt vmcnt(0)
	s_delay_alu instid0(VALU_DEP_2) | instskip(NEXT) | instid1(VALU_DEP_1)
	v_dual_fmac_f32 v88, v9, v81 :: v_dual_lshlrev_b32 v81, 16, v84
	v_fmac_f32_e32 v88, v10, v80
	v_and_b32_e32 v80, 0xffff0000, v84
	s_delay_alu instid0(VALU_DEP_2) | instskip(NEXT) | instid1(VALU_DEP_1)
	v_fmac_f32_e32 v88, v11, v81
	v_dual_fmac_f32 v88, v12, v80 :: v_dual_lshlrev_b32 v81, 16, v85
	v_and_b32_e32 v80, 0xffff0000, v85
	s_delay_alu instid0(VALU_DEP_2) | instskip(NEXT) | instid1(VALU_DEP_1)
	v_dual_fmac_f32 v88, v13, v81 :: v_dual_lshlrev_b32 v81, 16, v86
	v_fmac_f32_e32 v88, v14, v80
	v_and_b32_e32 v80, 0xffff0000, v86
	s_delay_alu instid0(VALU_DEP_2) | instskip(NEXT) | instid1(VALU_DEP_1)
	v_dual_fmac_f32 v88, v15, v81 :: v_dual_and_b32 v81, 0xffff0000, v87
	v_fmac_f32_e32 v88, v16, v80
	v_lshlrev_b32_e32 v80, 16, v87
	s_delay_alu instid0(VALU_DEP_1) | instskip(NEXT) | instid1(VALU_DEP_1)
	v_fmac_f32_e32 v88, v25, v80
	v_fmac_f32_e32 v88, v27, v81
	ds_bpermute_b32 v80, v28, v88
	s_waitcnt lgkmcnt(0)
	v_add_f32_e32 v80, v88, v80
	ds_bpermute_b32 v81, v29, v80
	s_waitcnt lgkmcnt(0)
	v_add_f32_e32 v80, v80, v81
	;; [unrolled: 3-line block ×3, first 2 shown]
	s_cbranch_vccnz .LBB14_16
; %bb.15:                               ;   in Loop: Header=BB14_6 Depth=1
	global_load_u16 v81, v[0:1], off offset:-6
	s_waitcnt vmcnt(0)
	v_fma_mix_f32 v80, v24, v81, v80 op_sel_hi:[0,1,0]
.LBB14_16:                              ;   in Loop: Header=BB14_6 Depth=1
	v_add_co_u32 v85, vcc_lo, v54, v41
	v_add_co_ci_u32_e32 v86, vcc_lo, 0, v55, vcc_lo
	s_and_not1_b32 vcc_lo, exec_lo, s11
	s_clause 0x1
	global_load_b128 v[81:84], v[85:86], off
	global_load_b128 v[85:88], v[85:86], off offset:128
	s_waitcnt vmcnt(1)
	v_lshlrev_b32_e32 v89, 16, v81
	v_and_b32_e32 v81, 0xffff0000, v81
	s_delay_alu instid0(VALU_DEP_2) | instskip(NEXT) | instid1(VALU_DEP_1)
	v_fma_f32 v89, v89, v3, 0
	v_dual_fmac_f32 v89, v81, v4 :: v_dual_lshlrev_b32 v90, 16, v82
	v_and_b32_e32 v81, 0xffff0000, v82
	s_delay_alu instid0(VALU_DEP_2) | instskip(NEXT) | instid1(VALU_DEP_1)
	v_dual_fmac_f32 v89, v90, v5 :: v_dual_lshlrev_b32 v82, 16, v83
	v_fmac_f32_e32 v89, v81, v6
	v_and_b32_e32 v81, 0xffff0000, v83
	s_delay_alu instid0(VALU_DEP_2) | instskip(NEXT) | instid1(VALU_DEP_1)
	v_dual_fmac_f32 v89, v82, v7 :: v_dual_lshlrev_b32 v82, 16, v84
	v_fmac_f32_e32 v89, v81, v8
	v_and_b32_e32 v81, 0xffff0000, v84
	s_waitcnt vmcnt(0)
	s_delay_alu instid0(VALU_DEP_2) | instskip(NEXT) | instid1(VALU_DEP_1)
	v_dual_fmac_f32 v89, v9, v82 :: v_dual_lshlrev_b32 v82, 16, v85
	v_fmac_f32_e32 v89, v10, v81
	v_and_b32_e32 v81, 0xffff0000, v85
	s_delay_alu instid0(VALU_DEP_2) | instskip(NEXT) | instid1(VALU_DEP_1)
	v_fmac_f32_e32 v89, v11, v82
	v_dual_fmac_f32 v89, v12, v81 :: v_dual_lshlrev_b32 v82, 16, v86
	v_and_b32_e32 v81, 0xffff0000, v86
	s_delay_alu instid0(VALU_DEP_2) | instskip(NEXT) | instid1(VALU_DEP_1)
	v_dual_fmac_f32 v89, v13, v82 :: v_dual_lshlrev_b32 v82, 16, v87
	v_fmac_f32_e32 v89, v14, v81
	v_and_b32_e32 v81, 0xffff0000, v87
	s_delay_alu instid0(VALU_DEP_2) | instskip(NEXT) | instid1(VALU_DEP_1)
	v_dual_fmac_f32 v89, v15, v82 :: v_dual_and_b32 v82, 0xffff0000, v88
	v_fmac_f32_e32 v89, v16, v81
	v_lshlrev_b32_e32 v81, 16, v88
	s_delay_alu instid0(VALU_DEP_1) | instskip(NEXT) | instid1(VALU_DEP_1)
	v_fmac_f32_e32 v89, v25, v81
	v_fmac_f32_e32 v89, v27, v82
	ds_bpermute_b32 v81, v28, v89
	s_waitcnt lgkmcnt(0)
	v_add_f32_e32 v81, v89, v81
	ds_bpermute_b32 v82, v29, v81
	s_waitcnt lgkmcnt(0)
	v_add_f32_e32 v81, v81, v82
	;; [unrolled: 3-line block ×3, first 2 shown]
	s_cbranch_vccnz .LBB14_18
; %bb.17:                               ;   in Loop: Header=BB14_6 Depth=1
	global_load_u16 v82, v[0:1], off offset:-4
	s_waitcnt vmcnt(0)
	v_fma_mix_f32 v81, v24, v82, v81 op_sel_hi:[0,1,0]
.LBB14_18:                              ;   in Loop: Header=BB14_6 Depth=1
	v_add_co_u32 v86, vcc_lo, v48, v41
	v_add_co_ci_u32_e32 v87, vcc_lo, 0, v49, vcc_lo
	s_and_not1_b32 vcc_lo, exec_lo, s11
	s_clause 0x1
	global_load_b128 v[82:85], v[86:87], off
	global_load_b128 v[86:89], v[86:87], off offset:128
	s_waitcnt vmcnt(1)
	v_lshlrev_b32_e32 v90, 16, v82
	v_and_b32_e32 v82, 0xffff0000, v82
	s_delay_alu instid0(VALU_DEP_2) | instskip(NEXT) | instid1(VALU_DEP_1)
	v_fma_f32 v90, v90, v3, 0
	v_dual_fmac_f32 v90, v82, v4 :: v_dual_lshlrev_b32 v91, 16, v83
	v_and_b32_e32 v82, 0xffff0000, v83
	s_delay_alu instid0(VALU_DEP_2) | instskip(NEXT) | instid1(VALU_DEP_1)
	v_dual_fmac_f32 v90, v91, v5 :: v_dual_lshlrev_b32 v83, 16, v84
	v_fmac_f32_e32 v90, v82, v6
	v_and_b32_e32 v82, 0xffff0000, v84
	s_delay_alu instid0(VALU_DEP_2) | instskip(NEXT) | instid1(VALU_DEP_1)
	v_dual_fmac_f32 v90, v83, v7 :: v_dual_lshlrev_b32 v83, 16, v85
	v_fmac_f32_e32 v90, v82, v8
	v_and_b32_e32 v82, 0xffff0000, v85
	s_waitcnt vmcnt(0)
	s_delay_alu instid0(VALU_DEP_2) | instskip(NEXT) | instid1(VALU_DEP_1)
	v_dual_fmac_f32 v90, v9, v83 :: v_dual_lshlrev_b32 v83, 16, v86
	v_fmac_f32_e32 v90, v10, v82
	v_and_b32_e32 v82, 0xffff0000, v86
	s_delay_alu instid0(VALU_DEP_2) | instskip(NEXT) | instid1(VALU_DEP_1)
	v_fmac_f32_e32 v90, v11, v83
	v_dual_fmac_f32 v90, v12, v82 :: v_dual_lshlrev_b32 v83, 16, v87
	v_and_b32_e32 v82, 0xffff0000, v87
	s_delay_alu instid0(VALU_DEP_2) | instskip(NEXT) | instid1(VALU_DEP_1)
	v_dual_fmac_f32 v90, v13, v83 :: v_dual_lshlrev_b32 v83, 16, v88
	v_fmac_f32_e32 v90, v14, v82
	v_and_b32_e32 v82, 0xffff0000, v88
	s_delay_alu instid0(VALU_DEP_2) | instskip(NEXT) | instid1(VALU_DEP_1)
	v_dual_fmac_f32 v90, v15, v83 :: v_dual_and_b32 v83, 0xffff0000, v89
	v_fmac_f32_e32 v90, v16, v82
	v_lshlrev_b32_e32 v82, 16, v89
	s_delay_alu instid0(VALU_DEP_1) | instskip(NEXT) | instid1(VALU_DEP_1)
	v_fmac_f32_e32 v90, v25, v82
	v_fmac_f32_e32 v90, v27, v83
	ds_bpermute_b32 v82, v28, v90
	s_waitcnt lgkmcnt(0)
	v_add_f32_e32 v82, v90, v82
	ds_bpermute_b32 v83, v29, v82
	s_waitcnt lgkmcnt(0)
	v_add_f32_e32 v82, v82, v83
	;; [unrolled: 3-line block ×3, first 2 shown]
	s_cbranch_vccnz .LBB14_20
; %bb.19:                               ;   in Loop: Header=BB14_6 Depth=1
	global_load_u16 v83, v[0:1], off offset:-2
	s_waitcnt vmcnt(0)
	v_fma_mix_f32 v82, v24, v83, v82 op_sel_hi:[0,1,0]
.LBB14_20:                              ;   in Loop: Header=BB14_6 Depth=1
	v_add_co_u32 v87, vcc_lo, v42, v41
	v_add_co_ci_u32_e32 v88, vcc_lo, 0, v43, vcc_lo
	s_and_not1_b32 vcc_lo, exec_lo, s11
	s_clause 0x1
	global_load_b128 v[83:86], v[87:88], off
	global_load_b128 v[87:90], v[87:88], off offset:128
	s_waitcnt vmcnt(1)
	v_lshlrev_b32_e32 v91, 16, v83
	v_and_b32_e32 v83, 0xffff0000, v83
	s_delay_alu instid0(VALU_DEP_2) | instskip(NEXT) | instid1(VALU_DEP_1)
	v_fma_f32 v91, v91, v3, 0
	v_fmac_f32_e32 v91, v83, v4
	v_and_b32_e32 v83, 0xffff0000, v84
	v_lshlrev_b32_e32 v92, 16, v84
	v_lshlrev_b32_e32 v84, 16, v85
	s_delay_alu instid0(VALU_DEP_2) | instskip(NEXT) | instid1(VALU_DEP_1)
	v_fmac_f32_e32 v91, v92, v5
	v_fmac_f32_e32 v91, v83, v6
	v_and_b32_e32 v83, 0xffff0000, v85
	s_delay_alu instid0(VALU_DEP_2) | instskip(NEXT) | instid1(VALU_DEP_1)
	v_dual_fmac_f32 v91, v84, v7 :: v_dual_lshlrev_b32 v84, 16, v86
	v_fmac_f32_e32 v91, v83, v8
	v_and_b32_e32 v83, 0xffff0000, v86
	s_waitcnt vmcnt(0)
	s_delay_alu instid0(VALU_DEP_2) | instskip(NEXT) | instid1(VALU_DEP_1)
	v_dual_fmac_f32 v91, v84, v9 :: v_dual_lshlrev_b32 v84, 16, v87
	v_fmac_f32_e32 v91, v83, v10
	v_and_b32_e32 v83, 0xffff0000, v87
	s_delay_alu instid0(VALU_DEP_2) | instskip(NEXT) | instid1(VALU_DEP_1)
	v_dual_fmac_f32 v91, v84, v11 :: v_dual_lshlrev_b32 v84, 16, v88
	v_fmac_f32_e32 v91, v83, v12
	v_and_b32_e32 v83, 0xffff0000, v88
	s_delay_alu instid0(VALU_DEP_2) | instskip(NEXT) | instid1(VALU_DEP_1)
	v_fmac_f32_e32 v91, v84, v13
	v_dual_fmac_f32 v91, v83, v14 :: v_dual_lshlrev_b32 v84, 16, v89
	v_and_b32_e32 v83, 0xffff0000, v89
	s_delay_alu instid0(VALU_DEP_2) | instskip(NEXT) | instid1(VALU_DEP_1)
	v_dual_fmac_f32 v91, v84, v15 :: v_dual_and_b32 v84, 0xffff0000, v90
	v_fmac_f32_e32 v91, v83, v16
	v_lshlrev_b32_e32 v83, 16, v90
	s_delay_alu instid0(VALU_DEP_1) | instskip(NEXT) | instid1(VALU_DEP_1)
	v_fmac_f32_e32 v91, v83, v25
	v_fmac_f32_e32 v91, v84, v27
	ds_bpermute_b32 v83, v28, v91
	s_waitcnt lgkmcnt(0)
	v_add_f32_e32 v83, v91, v83
	ds_bpermute_b32 v84, v29, v83
	s_waitcnt lgkmcnt(0)
	v_add_f32_e32 v83, v83, v84
	;; [unrolled: 3-line block ×3, first 2 shown]
	s_cbranch_vccnz .LBB14_22
; %bb.21:                               ;   in Loop: Header=BB14_6 Depth=1
	global_load_u16 v84, v[0:1], off
	s_waitcnt vmcnt(0)
	v_fma_mix_f32 v83, v24, v84, v83 op_sel_hi:[0,1,0]
.LBB14_22:                              ;   in Loop: Header=BB14_6 Depth=1
	v_add_co_u32 v88, vcc_lo, v44, v41
	v_add_co_ci_u32_e32 v89, vcc_lo, 0, v45, vcc_lo
	v_dual_add_f32 v92, 0x40051340, v76 :: v_dual_add_f32 v93, 0x40051340, v77
	v_dual_add_f32 v94, 0x40051340, v78 :: v_dual_add_f32 v95, 0x40051340, v79
	s_clause 0x1
	global_load_b128 v[84:87], v[88:89], off
	global_load_b128 v[88:91], v[88:89], off offset:128
	v_add_f32_e32 v96, 0x40051340, v81
	v_max3_f32 v92, v75, v92, v93
	v_add_f32_e32 v93, 0x40051340, v80
	v_cndmask_b32_e64 v74, v74, v76, s3
	s_add_i32 s16, s16, s26
	s_delay_alu instid0(VALU_DEP_3) | instskip(SKIP_1) | instid1(VALU_DEP_3)
	v_max3_f32 v92, v92, v94, v95
	v_dual_add_f32 v94, 0x40051340, v82 :: v_dual_add_f32 v95, 0x40051340, v83
	v_cndmask_b32_e64 v74, v74, v77, s4
	s_cmp_ge_i32 s16, s42
	s_delay_alu instid0(VALU_DEP_3) | instskip(NEXT) | instid1(VALU_DEP_2)
	v_max3_f32 v92, v92, v93, v96
	v_cndmask_b32_e64 v74, v74, v78, s5
	s_delay_alu instid0(VALU_DEP_2) | instskip(NEXT) | instid1(VALU_DEP_2)
	v_max3_f32 v92, v92, v94, v95
	v_cndmask_b32_e64 v74, v74, v79, s6
	ds_bpermute_b32 v93, v38, v92
	v_cndmask_b32_e64 v74, v74, v80, s7
	s_delay_alu instid0(VALU_DEP_1) | instskip(SKIP_1) | instid1(VALU_DEP_2)
	v_cndmask_b32_e64 v74, v74, v81, s8
	v_add_co_u32 v81, vcc_lo, v46, v41
	v_cndmask_b32_e64 v74, v74, v82, s9
	v_add_co_ci_u32_e32 v82, vcc_lo, 0, v47, vcc_lo
	v_add_co_u32 v100, vcc_lo, v50, v41
	s_delay_alu instid0(VALU_DEP_3)
	v_cndmask_b32_e64 v74, v74, v83, s2
	v_add_co_ci_u32_e32 v101, vcc_lo, 0, v51, vcc_lo
	s_waitcnt lgkmcnt(0)
	v_max_f32_e32 v76, v93, v93
	v_add_co_u32 v108, vcc_lo, v52, v41
	v_add_co_ci_u32_e32 v109, vcc_lo, 0, v53, vcc_lo
	s_delay_alu instid0(VALU_DEP_3)
	v_max_f32_e32 v76, v92, v76
	v_add_co_u32 v116, vcc_lo, v56, v41
	v_add_co_ci_u32_e32 v117, vcc_lo, 0, v57, vcc_lo
	ds_bpermute_b32 v77, v39, v76
	s_waitcnt lgkmcnt(0)
	v_max_f32_e32 v77, v77, v77
	s_delay_alu instid0(VALU_DEP_1) | instskip(NEXT) | instid1(VALU_DEP_1)
	v_max_f32_e32 v76, v76, v77
	v_sub_f32_e32 v74, v74, v76
	s_delay_alu instid0(VALU_DEP_1) | instskip(NEXT) | instid1(VALU_DEP_1)
	v_mul_f32_e32 v77, 0x3fb8aa3b, v74
	v_fma_f32 v78, 0x3fb8aa3b, v74, -v77
	v_rndne_f32_e32 v79, v77
	s_delay_alu instid0(VALU_DEP_1) | instskip(SKIP_2) | instid1(VALU_DEP_3)
	v_dual_fmac_f32 v78, 0x32a5705f, v74 :: v_dual_sub_f32 v77, v77, v79
	v_sub_f32_e32 v75, v75, v76
	v_cvt_i32_f32_e32 v79, v79
	v_add_f32_e32 v77, v77, v78
	v_cmp_ngt_f32_e32 vcc_lo, 0xc2ce8ed0, v74
	s_delay_alu instid0(VALU_DEP_2) | instskip(SKIP_2) | instid1(VALU_DEP_1)
	v_exp_f32_e32 v77, v77
	s_waitcnt_depctr 0xfff
	v_ldexp_f32 v77, v77, v79
	v_dual_mul_f32 v80, 0x3fb8aa3b, v75 :: v_dual_cndmask_b32 v93, 0, v77
	v_add_co_u32 v124, vcc_lo, v58, v41
	v_add_co_ci_u32_e32 v125, vcc_lo, 0, v59, vcc_lo
	v_cmp_nlt_f32_e32 vcc_lo, 0x42b17218, v74
	s_delay_alu instid0(VALU_DEP_4) | instskip(SKIP_4) | instid1(VALU_DEP_4)
	v_fma_f32 v78, 0x3fb8aa3b, v75, -v80
	v_rndne_f32_e32 v83, v80
	v_cndmask_b32_e32 v74, 0x7f800000, v93, vcc_lo
	v_add_co_u32 v132, vcc_lo, v62, v41
	v_add_co_ci_u32_e32 v133, vcc_lo, 0, v63, vcc_lo
	v_sub_f32_e32 v80, v80, v83
	v_cmp_ngt_f32_e32 vcc_lo, 0xc2ce8ed0, v75
	v_fmac_f32_e32 v78, 0x32a5705f, v75
	v_cvt_f16_f32_e32 v105, v74
	s_delay_alu instid0(VALU_DEP_2)
	v_add_f32_e32 v92, v80, v78
	global_load_b128 v[77:80], v[81:82], off
	v_exp_f32_e32 v104, v92
	global_load_b128 v[92:95], v[81:82], off offset:128
	s_clause 0x1
	global_load_b128 v[96:99], v[100:101], off
	global_load_b128 v[100:103], v[100:101], off offset:128
	ds_store_b16 v18, v105
	ds_load_u16 v82, v40
	v_cvt_i32_f32_e32 v81, v83
	s_delay_alu instid0(VALU_DEP_1)
	v_ldexp_f32 v81, v104, v81
	s_clause 0x1
	global_load_b128 v[104:107], v[108:109], off
	global_load_b128 v[108:111], v[108:109], off offset:128
	s_clause 0x1
	global_load_b128 v[112:115], v[116:117], off
	global_load_b128 v[116:119], v[116:117], off offset:128
	;; [unrolled: 3-line block ×3, first 2 shown]
	global_load_b128 v[128:131], v[132:133], off
	ds_load_u16 v136, v40 offset:8
	ds_load_u16 v137, v40 offset:16
	;; [unrolled: 1-line block ×7, first 2 shown]
	v_cndmask_b32_e32 v81, 0, v81, vcc_lo
	v_cmp_nlt_f32_e32 vcc_lo, 0x42b17218, v75
	s_delay_alu instid0(VALU_DEP_2) | instskip(NEXT) | instid1(VALU_DEP_1)
	v_cndmask_b32_e32 v75, 0x7f800000, v81, vcc_lo
	v_cvt_f16_f32_e64 v145, v75
	v_fma_f32 v26, v26, v75, v74
	s_waitcnt vmcnt(12) lgkmcnt(7)
	v_pk_mul_f16 v134, v82, v84 op_sel_hi:[0,1]
	s_waitcnt vmcnt(11)
	v_pk_mul_f16 v143, v82, v89 op_sel_hi:[0,1]
	v_add_co_u32 v89, vcc_lo, v64, v41
	v_pk_mul_f16 v85, v82, v85 op_sel_hi:[0,1]
	v_pk_mul_f16 v86, v82, v86 op_sel_hi:[0,1]
	;; [unrolled: 1-line block ×6, first 2 shown]
	v_add_co_ci_u32_e32 v90, vcc_lo, 0, v65, vcc_lo
	global_load_b128 v[81:84], v[132:133], off offset:128
	v_pk_fma_f16 v32, v145, v32, v134 op_sel_hi:[0,1,1]
	v_pk_fma_f16 v37, v145, v37, v85 op_sel_hi:[0,1,1]
	;; [unrolled: 1-line block ×4, first 2 shown]
	global_load_b128 v[85:88], v[89:90], off
	v_pk_fma_f16 v34, v145, v34, v135 op_sel_hi:[0,1,1]
	global_load_b128 v[132:135], v[89:90], off offset:128
	v_add_co_u32 v42, vcc_lo, v42, s15
	v_add_co_ci_u32_e32 v43, vcc_lo, 0, v43, vcc_lo
	v_add_co_u32 v0, vcc_lo, v0, s18
	v_add_co_ci_u32_e32 v1, vcc_lo, s19, v1, vcc_lo
	;; [unrolled: 2-line block ×5, first 2 shown]
	v_pk_fma_f16 v33, v145, v33, v143 op_sel_hi:[0,1,1]
	v_add_co_u32 v50, vcc_lo, v50, s10
	v_pk_fma_f16 v31, v145, v31, v144 op_sel_hi:[0,1,1]
	v_pk_fma_f16 v2, v145, v2, v91 op_sel_hi:[0,1,1]
	v_add_co_ci_u32_e32 v51, vcc_lo, 0, v51, vcc_lo
	v_add_co_u32 v52, vcc_lo, v52, s10
	v_add_co_ci_u32_e32 v53, vcc_lo, 0, v53, vcc_lo
	v_add_co_u32 v54, vcc_lo, v54, s15
	v_add_co_ci_u32_e32 v55, vcc_lo, 0, v55, vcc_lo
	v_add_co_u32 v56, vcc_lo, v56, s10
	v_add_co_ci_u32_e32 v57, vcc_lo, 0, v57, vcc_lo
	v_add_co_u32 v58, vcc_lo, v58, s10
	v_add_co_ci_u32_e32 v59, vcc_lo, 0, v59, vcc_lo
	v_add_co_u32 v60, vcc_lo, v60, s15
	v_add_co_ci_u32_e32 v61, vcc_lo, 0, v61, vcc_lo
	v_add_co_u32 v62, vcc_lo, v62, s10
	v_add_co_ci_u32_e32 v63, vcc_lo, 0, v63, vcc_lo
	v_add_co_u32 v64, vcc_lo, v64, s10
	v_add_co_ci_u32_e32 v65, vcc_lo, 0, v65, vcc_lo
	v_add_co_u32 v66, vcc_lo, v66, s15
	v_add_co_ci_u32_e32 v67, vcc_lo, 0, v67, vcc_lo
	v_add_co_u32 v68, vcc_lo, v68, s15
	v_add_co_ci_u32_e32 v69, vcc_lo, 0, v69, vcc_lo
	v_add_co_u32 v70, vcc_lo, v70, s15
	v_add_co_ci_u32_e32 v71, vcc_lo, 0, v71, vcc_lo
	v_add_co_u32 v72, vcc_lo, v72, s15
	v_add_co_ci_u32_e32 v73, vcc_lo, 0, v73, vcc_lo
	s_waitcnt vmcnt(13) lgkmcnt(6)
	v_pk_fma_f16 v32, v136, v77, v32 op_sel_hi:[0,1,1]
	v_pk_fma_f16 v37, v136, v78, v37 op_sel_hi:[0,1,1]
	v_pk_fma_f16 v36, v136, v79, v36 op_sel_hi:[0,1,1]
	v_pk_fma_f16 v35, v136, v80, v35 op_sel_hi:[0,1,1]
	s_waitcnt vmcnt(12)
	v_pk_fma_f16 v34, v136, v92, v34 op_sel_hi:[0,1,1]
	v_pk_fma_f16 v33, v136, v93, v33 op_sel_hi:[0,1,1]
	v_pk_fma_f16 v31, v136, v94, v31 op_sel_hi:[0,1,1]
	v_pk_fma_f16 v2, v136, v95, v2 op_sel_hi:[0,1,1]
	s_waitcnt vmcnt(11) lgkmcnt(5)
	v_pk_fma_f16 v32, v137, v96, v32 op_sel_hi:[0,1,1]
	v_pk_fma_f16 v37, v137, v97, v37 op_sel_hi:[0,1,1]
	v_pk_fma_f16 v36, v137, v98, v36 op_sel_hi:[0,1,1]
	v_pk_fma_f16 v35, v137, v99, v35 op_sel_hi:[0,1,1]
	s_waitcnt vmcnt(10)
	v_pk_fma_f16 v34, v137, v100, v34 op_sel_hi:[0,1,1]
	v_pk_fma_f16 v33, v137, v101, v33 op_sel_hi:[0,1,1]
	v_pk_fma_f16 v31, v137, v102, v31 op_sel_hi:[0,1,1]
	v_pk_fma_f16 v2, v137, v103, v2 op_sel_hi:[0,1,1]
	;; [unrolled: 10-line block ×7, first 2 shown]
	s_cbranch_scc1 .LBB14_25
; %bb.23:                               ;   in Loop: Header=BB14_6 Depth=1
	v_mov_b32_e32 v75, v76
	s_branch .LBB14_6
.LBB14_24:
	v_dual_mov_b32 v76, 0xfeffffff :: v_dual_mov_b32 v37, 0
	v_dual_mov_b32 v26, 0 :: v_dual_mov_b32 v35, 0
	;; [unrolled: 1-line block ×4, first 2 shown]
	s_waitcnt vmcnt(1)
	v_mov_b32_e32 v2, 0
.LBB14_25:
	v_or_b32_e32 v0, s14, v22
	s_cmp_lg_u64 s[24:25], 0
	s_cselect_b32 s2, -1, 0
	s_delay_alu instid0(VALU_DEP_1) | instskip(SKIP_1) | instid1(SALU_CYCLE_1)
	v_cmp_eq_u32_e32 vcc_lo, 0, v0
	s_and_b32 s3, vcc_lo, s2
	s_and_saveexec_b32 s2, s3
	s_cbranch_execz .LBB14_27
; %bb.26:
	s_ashr_i32 s41, s40, 31
	v_max_f32_e32 v0, v76, v76
	s_lshl_b64 s[4:5], s[40:41], 2
	s_delay_alu instid0(SALU_CYCLE_1) | instskip(SKIP_4) | instid1(VALU_DEP_1)
	s_add_u32 s4, s24, s4
	s_addc_u32 s5, s25, s5
	s_load_b32 s3, s[4:5], 0x0
	s_waitcnt lgkmcnt(0)
	v_max_f32_e64 v1, s3, s3
	v_max_f32_e32 v0, v1, v0
	s_delay_alu instid0(VALU_DEP_1) | instskip(SKIP_1) | instid1(VALU_DEP_1)
	v_sub_f32_e32 v3, s3, v0
	s_waitcnt vmcnt(0)
	v_mul_f32_e32 v5, 0x3fb8aa3b, v3
	s_delay_alu instid0(VALU_DEP_1) | instskip(SKIP_2) | instid1(VALU_DEP_3)
	v_fma_f32 v8, 0x3fb8aa3b, v3, -v5
	v_sub_f32_e32 v1, v76, v0
	v_rndne_f32_e32 v9, v5
	v_fmac_f32_e32 v8, 0x32a5705f, v3
	s_delay_alu instid0(VALU_DEP_3) | instskip(SKIP_1) | instid1(VALU_DEP_4)
	v_mul_f32_e32 v4, 0x3fb8aa3b, v1
	v_cmp_ngt_f32_e32 vcc_lo, 0xc2ce8ed0, v1
	v_sub_f32_e32 v5, v5, v9
	s_delay_alu instid0(VALU_DEP_3) | instskip(SKIP_1) | instid1(VALU_DEP_2)
	v_fma_f32 v6, 0x3fb8aa3b, v1, -v4
	v_rndne_f32_e32 v7, v4
	v_dual_add_f32 v5, v5, v8 :: v_dual_fmac_f32 v6, 0x32a5705f, v1
	s_delay_alu instid0(VALU_DEP_2) | instskip(NEXT) | instid1(VALU_DEP_2)
	v_sub_f32_e32 v4, v4, v7
	v_exp_f32_e32 v5, v5
	s_delay_alu instid0(VALU_DEP_1) | instskip(SKIP_2) | instid1(VALU_DEP_3)
	v_add_f32_e32 v4, v4, v6
	v_cvt_i32_f32_e32 v6, v7
	v_cvt_i32_f32_e32 v7, v9
	v_exp_f32_e32 v4, v4
	s_waitcnt_depctr 0xfff
	v_ldexp_f32 v5, v5, v7
	v_ldexp_f32 v4, v4, v6
	s_delay_alu instid0(VALU_DEP_1) | instskip(SKIP_1) | instid1(VALU_DEP_4)
	v_cndmask_b32_e32 v4, 0, v4, vcc_lo
	v_cmp_ngt_f32_e32 vcc_lo, 0xc2ce8ed0, v3
	v_cndmask_b32_e32 v5, 0, v5, vcc_lo
	v_cmp_nlt_f32_e32 vcc_lo, 0x42b17218, v1
	s_delay_alu instid0(VALU_DEP_4) | instskip(SKIP_1) | instid1(VALU_DEP_4)
	v_dual_mov_b32 v76, v0 :: v_dual_cndmask_b32 v1, 0x7f800000, v4
	v_cmp_nlt_f32_e32 vcc_lo, 0x42b17218, v3
	v_cndmask_b32_e32 v3, 0x7f800000, v5, vcc_lo
	v_cmp_eq_u32_e32 vcc_lo, 0, v21
	s_delay_alu instid0(VALU_DEP_2) | instskip(NEXT) | instid1(VALU_DEP_1)
	v_cndmask_b32_e32 v3, 0, v3, vcc_lo
	v_fmac_f32_e32 v3, v26, v1
	s_delay_alu instid0(VALU_DEP_1) | instskip(SKIP_1) | instid1(VALU_DEP_1)
	v_mov_b32_e32 v26, v3
	v_cvt_f16_f32_e32 v4, v1
	v_pk_mul_f16 v32, v4, v32 op_sel_hi:[0,1]
	v_pk_mul_f16 v37, v4, v37 op_sel_hi:[0,1]
	;; [unrolled: 1-line block ×8, first 2 shown]
.LBB14_27:
	s_or_b32 exec_lo, exec_lo, s2
	s_delay_alu instid0(SALU_CYCLE_1)
	s_mov_b32 s2, exec_lo
	v_cmpx_eq_u32_e32 0, v22
	s_cbranch_execz .LBB14_29
; %bb.28:
	v_dual_mov_b32 v0, 0xfeffffff :: v_dual_mov_b32 v1, 0
	v_add_nc_u32_e32 v3, 0x1000, v19
	ds_store_2addr_b32 v3, v0, v1 offset1:32
.LBB14_29:
	s_or_b32 exec_lo, exec_lo, s2
	v_cmp_eq_u32_e32 vcc_lo, 0, v21
	s_waitcnt vmcnt(0)
	v_lshlrev_b32_e32 v7, 2, v22
	s_waitcnt lgkmcnt(0)
	s_barrier
	buffer_gl0_inv
	s_and_saveexec_b32 s2, vcc_lo
	s_cbranch_execz .LBB14_31
; %bb.30:
	ds_store_b32 v7, v76 offset:4096
.LBB14_31:
	s_or_b32 exec_lo, exec_lo, s2
	s_waitcnt lgkmcnt(0)
	s_barrier
	buffer_gl0_inv
	ds_load_b32 v0, v19 offset:4096
	v_xor_b32_e32 v1, 16, v23
	v_xor_b32_e32 v3, 8, v23
	;; [unrolled: 1-line block ×3, first 2 shown]
	s_delay_alu instid0(VALU_DEP_3) | instskip(NEXT) | instid1(VALU_DEP_1)
	v_cmp_gt_i32_e64 s2, 32, v1
	v_cndmask_b32_e64 v1, v23, v1, s2
	s_delay_alu instid0(VALU_DEP_4) | instskip(NEXT) | instid1(VALU_DEP_2)
	v_cmp_gt_i32_e64 s2, 32, v3
	v_lshlrev_b32_e32 v4, 2, v1
	s_delay_alu instid0(VALU_DEP_2)
	v_cndmask_b32_e64 v3, v23, v3, s2
	s_waitcnt lgkmcnt(0)
	ds_bpermute_b32 v1, v4, v0
	s_waitcnt lgkmcnt(0)
	v_dual_max_f32 v0, v0, v0 :: v_dual_max_f32 v1, v1, v1
	v_lshlrev_b32_e32 v5, 2, v3
	v_xor_b32_e32 v3, 4, v23
	s_delay_alu instid0(VALU_DEP_3) | instskip(NEXT) | instid1(VALU_DEP_2)
	v_max_f32_e32 v0, v0, v1
	v_cmp_gt_i32_e64 s2, 32, v3
	ds_bpermute_b32 v1, v5, v0
	v_cndmask_b32_e64 v3, v23, v3, s2
	s_delay_alu instid0(VALU_DEP_1) | instskip(SKIP_1) | instid1(VALU_DEP_1)
	v_lshlrev_b32_e32 v6, 2, v3
	v_xor_b32_e32 v3, 2, v23
	v_cmp_gt_i32_e64 s2, 32, v3
	s_delay_alu instid0(VALU_DEP_1) | instskip(SKIP_3) | instid1(VALU_DEP_3)
	v_cndmask_b32_e64 v3, v23, v3, s2
	v_cmp_gt_i32_e64 s2, 32, v8
	s_waitcnt lgkmcnt(0)
	v_max_f32_e32 v1, v1, v1
	v_lshlrev_b32_e32 v3, 2, v3
	s_delay_alu instid0(VALU_DEP_3) | instskip(NEXT) | instid1(VALU_DEP_3)
	v_cndmask_b32_e64 v8, v23, v8, s2
	v_max_f32_e32 v0, v0, v1
	ds_bpermute_b32 v1, v6, v0
	s_waitcnt lgkmcnt(0)
	v_max_f32_e32 v1, v1, v1
	s_delay_alu instid0(VALU_DEP_1) | instskip(SKIP_3) | instid1(VALU_DEP_1)
	v_max_f32_e32 v0, v0, v1
	ds_bpermute_b32 v1, v3, v0
	s_waitcnt lgkmcnt(0)
	v_max_f32_e32 v9, v1, v1
	v_dual_max_f32 v0, v0, v9 :: v_dual_lshlrev_b32 v1, 2, v8
	ds_bpermute_b32 v8, v1, v0
	s_waitcnt lgkmcnt(0)
	v_max_f32_e32 v8, v8, v8
	s_delay_alu instid0(VALU_DEP_1) | instskip(NEXT) | instid1(VALU_DEP_1)
	v_max_f32_e32 v0, v0, v8
	v_sub_f32_e32 v8, v76, v0
	s_delay_alu instid0(VALU_DEP_1) | instskip(NEXT) | instid1(VALU_DEP_1)
	v_mul_f32_e32 v9, 0x3fb8aa3b, v8
	v_fma_f32 v10, 0x3fb8aa3b, v8, -v9
	v_rndne_f32_e32 v11, v9
	s_delay_alu instid0(VALU_DEP_1) | instskip(NEXT) | instid1(VALU_DEP_1)
	v_dual_fmamk_f32 v10, v8, 0x32a5705f, v10 :: v_dual_sub_f32 v9, v9, v11
	v_add_f32_e32 v9, v9, v10
	v_cvt_i32_f32_e32 v10, v11
	v_cmp_ngt_f32_e64 s2, 0xc2ce8ed0, v8
	s_delay_alu instid0(VALU_DEP_3) | instskip(SKIP_2) | instid1(VALU_DEP_1)
	v_exp_f32_e32 v9, v9
	s_waitcnt_depctr 0xfff
	v_ldexp_f32 v9, v9, v10
	v_cndmask_b32_e64 v9, 0, v9, s2
	v_cmp_nlt_f32_e64 s2, 0x42b17218, v8
	s_delay_alu instid0(VALU_DEP_1) | instskip(NEXT) | instid1(VALU_DEP_1)
	v_cndmask_b32_e64 v9, 0x7f800000, v9, s2
	v_mul_f32_e32 v8, v26, v9
	v_cvt_f16_f32_e32 v14, v9
	ds_bpermute_b32 v8, v4, v8
	v_pk_mul_f16 v11, v14, v37 op_sel_hi:[0,1]
	v_pk_mul_f16 v12, v14, v36 op_sel_hi:[0,1]
	;; [unrolled: 1-line block ×4, first 2 shown]
	s_waitcnt lgkmcnt(0)
	v_fmac_f32_e32 v8, v26, v9
	ds_bpermute_b32 v10, v5, v8
	s_waitcnt lgkmcnt(0)
	v_add_f32_e32 v8, v8, v10
	ds_bpermute_b32 v10, v6, v8
	s_waitcnt lgkmcnt(0)
	v_add_f32_e32 v8, v8, v10
	;; [unrolled: 3-line block ×3, first 2 shown]
	v_lshlrev_b32_e32 v10, 5, v21
	v_pk_mul_f16 v21, v14, v34 op_sel_hi:[0,1]
	ds_bpermute_b32 v9, v1, v8
	v_and_b32_e32 v13, 0xf00, v10
	v_pk_mul_f16 v10, v14, v32 op_sel_hi:[0,1]
	s_delay_alu instid0(VALU_DEP_2) | instskip(SKIP_2) | instid1(VALU_DEP_3)
	v_lshl_add_u32 v15, v22, 10, v13
	v_pk_mul_f16 v13, v14, v35 op_sel_hi:[0,1]
	v_pk_mul_f16 v22, v14, v33 op_sel_hi:[0,1]
	v_lshl_or_b32 v15, v20, 2, v15
	ds_store_b128 v15, v[10:13]
	ds_store_b128 v15, v[21:24] offset:128
	s_and_saveexec_b32 s2, vcc_lo
	s_cbranch_execz .LBB14_33
; %bb.32:
	s_waitcnt lgkmcnt(2)
	v_add_f32_e32 v2, v8, v9
	ds_store_b32 v7, v2 offset:4224
.LBB14_33:
	s_or_b32 exec_lo, exec_lo, s2
	s_waitcnt lgkmcnt(0)
	s_barrier
	buffer_gl0_inv
	ds_load_b32 v2, v19 offset:4224
	ds_load_u16 v7, v18
	ds_load_u16 v8, v18 offset:256
	ds_load_u16 v9, v18 offset:512
	;; [unrolled: 1-line block ×6, first 2 shown]
	s_mov_b32 s3, 0
	s_waitcnt lgkmcnt(7)
	ds_bpermute_b32 v4, v4, v2
	s_waitcnt lgkmcnt(0)
	v_add_f32_e32 v2, v2, v4
	ds_bpermute_b32 v4, v5, v2
	v_cvt_f32_f16_e32 v5, v7
	v_cvt_f32_f16_e32 v7, v8
	;; [unrolled: 1-line block ×3, first 2 shown]
	s_delay_alu instid0(VALU_DEP_3) | instskip(NEXT) | instid1(VALU_DEP_1)
	v_add_f32_e32 v5, 0, v5
	v_add_f32_e32 v5, v5, v7
	v_cvt_f32_f16_e32 v7, v10
	v_cvt_f32_f16_e32 v10, v13
	s_waitcnt lgkmcnt(0)
	v_add_f32_e32 v2, v2, v4
	v_cvt_f32_f16_e32 v4, v9
	v_cvt_f32_f16_e32 v9, v12
	ds_bpermute_b32 v6, v6, v2
	v_add_f32_e32 v4, v5, v4
	ds_load_u16 v5, v18 offset:1792
	s_waitcnt lgkmcnt(1)
	v_add_f32_e32 v2, v2, v6
	ds_bpermute_b32 v3, v3, v2
	s_waitcnt lgkmcnt(0)
	v_add_f32_e32 v2, v2, v3
	ds_bpermute_b32 v1, v1, v2
	v_add_f32_e32 v4, v4, v7
	ds_load_u16 v7, v18 offset:2048
	s_waitcnt lgkmcnt(1)
	v_dual_add_f32 v1, v2, v1 :: v_dual_add_f32 v4, v4, v8
	ds_load_u16 v8, v18 offset:2304
	v_cvt_f32_f16_e32 v5, v5
	s_waitcnt lgkmcnt(1)
	v_cvt_f32_f16_e32 v7, v7
	v_add_f32_e32 v4, v4, v9
	ds_load_u16 v6, v18 offset:2560
	ds_load_u16 v9, v18 offset:2816
	;; [unrolled: 1-line block ×5, first 2 shown]
	s_load_b32 s1, s[0:1], 0xd4
	s_mul_i32 s0, s12, s34
	v_add_f32_e32 v4, v4, v10
	s_delay_alu instid0(VALU_DEP_1) | instskip(NEXT) | instid1(VALU_DEP_1)
	v_add_f32_e32 v4, v4, v5
	v_add_f32_e32 v4, v4, v7
	s_waitcnt lgkmcnt(0)
	v_cvt_f32_f16_e32 v5, v8
	v_cvt_f32_f16_e32 v6, v6
	;; [unrolled: 1-line block ×4, first 2 shown]
	s_delay_alu instid0(VALU_DEP_4) | instskip(SKIP_4) | instid1(VALU_DEP_2)
	v_add_f32_e32 v4, v4, v5
	ds_load_u16 v5, v18 offset:3840
	s_cmp_eq_u32 s1, 1
	v_add_f32_e32 v4, v4, v6
	v_cvt_f32_f16_e32 v6, v12
	v_add_f32_e32 v4, v4, v7
	s_delay_alu instid0(VALU_DEP_1) | instskip(SKIP_1) | instid1(VALU_DEP_2)
	v_add_f32_e32 v3, v4, v3
	v_cvt_f32_f16_e32 v4, v13
	v_add_f32_e32 v3, v3, v6
	s_waitcnt lgkmcnt(0)
	v_cvt_f32_f16_e32 v5, v5
	s_delay_alu instid0(VALU_DEP_2) | instskip(NEXT) | instid1(VALU_DEP_1)
	v_add_f32_e32 v3, v3, v4
	v_add_f32_e32 v6, v3, v5
	s_delay_alu instid0(VALU_DEP_1) | instskip(NEXT) | instid1(VALU_DEP_1)
	v_div_scale_f32 v2, null, v1, v1, v6
	v_rcp_f32_e32 v3, v2
	s_waitcnt_depctr 0xfff
	v_fma_f32 v4, -v2, v3, 1.0
	s_delay_alu instid0(VALU_DEP_1) | instskip(SKIP_1) | instid1(VALU_DEP_1)
	v_fmac_f32_e32 v3, v4, v3
	v_div_scale_f32 v5, vcc_lo, v6, v1, v6
	v_mul_f32_e32 v4, v5, v3
	s_delay_alu instid0(VALU_DEP_1) | instskip(NEXT) | instid1(VALU_DEP_1)
	v_fma_f32 v7, -v2, v4, v5
	v_fmac_f32_e32 v4, v7, v3
	s_delay_alu instid0(VALU_DEP_1) | instskip(NEXT) | instid1(VALU_DEP_1)
	v_fma_f32 v2, -v2, v4, v5
	v_div_fmas_f32 v2, v2, v3, v4
	s_cselect_b32 vcc_lo, -1, 0
	s_add_i32 s0, s0, s13
	v_mov_b32_e32 v3, 0
	s_mul_i32 s0, s0, s35
	v_div_fixup_f32 v7, v2, v1, v6
	s_add_i32 s0, s0, s40
	s_delay_alu instid0(SALU_CYCLE_1) | instskip(NEXT) | instid1(SALU_CYCLE_1)
	s_mul_i32 s0, s1, s0
	s_add_i32 s2, s0, s14
	v_cmp_eq_u32_e64 s0, 0, v17
	v_lshl_or_b32 v2, s2, 7, v17
	s_cmp_lg_u32 s1, 1
	s_cselect_b32 s1, -1, 0
	s_delay_alu instid0(VALU_DEP_1) | instskip(SKIP_2) | instid1(VALU_DEP_2)
	v_lshlrev_b64 v[4:5], 2, v[2:3]
	v_cndmask_b32_e32 v2, v6, v7, vcc_lo
	s_and_b32 s0, s0, s1
	v_add_co_u32 v4, vcc_lo, s28, v4
	s_delay_alu instid0(VALU_DEP_3)
	v_add_co_ci_u32_e32 v5, vcc_lo, s29, v5, vcc_lo
	global_store_b32 v[4:5], v2, off
	s_and_saveexec_b32 s1, s0
	s_cbranch_execz .LBB14_35
; %bb.34:
	s_lshl_b64 s[0:1], s[2:3], 3
	s_delay_alu instid0(SALU_CYCLE_1)
	s_add_u32 s0, s30, s0
	s_addc_u32 s1, s31, s1
	global_store_b64 v3, v[0:1], s[0:1]
.LBB14_35:
	s_nop 0
	s_sendmsg sendmsg(MSG_DEALLOC_VGPRS)
	s_endpgm
	.section	.rodata,"a",@progbits
	.p2align	6, 0x0
	.amdhsa_kernel _ZL18flash_attn_ext_vecILi128ELi1EL9ggml_type30ELS0_1ELb0EEvPKcS2_S2_S2_S2_PKiPfP15HIP_vector_typeIfLj2EEffffjfiS6_IjLj3EEiiiiiiiiiiiliiliiiiil
		.amdhsa_group_segment_fixed_size 4352
		.amdhsa_private_segment_fixed_size 0
		.amdhsa_kernarg_size 464
		.amdhsa_user_sgpr_count 13
		.amdhsa_user_sgpr_dispatch_ptr 0
		.amdhsa_user_sgpr_queue_ptr 0
		.amdhsa_user_sgpr_kernarg_segment_ptr 1
		.amdhsa_user_sgpr_dispatch_id 0
		.amdhsa_user_sgpr_private_segment_size 0
		.amdhsa_wavefront_size32 1
		.amdhsa_uses_dynamic_stack 0
		.amdhsa_enable_private_segment 0
		.amdhsa_system_sgpr_workgroup_id_x 1
		.amdhsa_system_sgpr_workgroup_id_y 1
		.amdhsa_system_sgpr_workgroup_id_z 1
		.amdhsa_system_sgpr_workgroup_info 0
		.amdhsa_system_vgpr_workitem_id 1
		.amdhsa_next_free_vgpr 146
		.amdhsa_next_free_sgpr 54
		.amdhsa_reserve_vcc 1
		.amdhsa_float_round_mode_32 0
		.amdhsa_float_round_mode_16_64 0
		.amdhsa_float_denorm_mode_32 3
		.amdhsa_float_denorm_mode_16_64 3
		.amdhsa_dx10_clamp 1
		.amdhsa_ieee_mode 1
		.amdhsa_fp16_overflow 0
		.amdhsa_workgroup_processor_mode 1
		.amdhsa_memory_ordered 1
		.amdhsa_forward_progress 0
		.amdhsa_shared_vgpr_count 0
		.amdhsa_exception_fp_ieee_invalid_op 0
		.amdhsa_exception_fp_denorm_src 0
		.amdhsa_exception_fp_ieee_div_zero 0
		.amdhsa_exception_fp_ieee_overflow 0
		.amdhsa_exception_fp_ieee_underflow 0
		.amdhsa_exception_fp_ieee_inexact 0
		.amdhsa_exception_int_div_zero 0
	.end_amdhsa_kernel
	.section	.text._ZL18flash_attn_ext_vecILi128ELi1EL9ggml_type30ELS0_1ELb0EEvPKcS2_S2_S2_S2_PKiPfP15HIP_vector_typeIfLj2EEffffjfiS6_IjLj3EEiiiiiiiiiiiliiliiiiil,"axG",@progbits,_ZL18flash_attn_ext_vecILi128ELi1EL9ggml_type30ELS0_1ELb0EEvPKcS2_S2_S2_S2_PKiPfP15HIP_vector_typeIfLj2EEffffjfiS6_IjLj3EEiiiiiiiiiiiliiliiiiil,comdat
.Lfunc_end14:
	.size	_ZL18flash_attn_ext_vecILi128ELi1EL9ggml_type30ELS0_1ELb0EEvPKcS2_S2_S2_S2_PKiPfP15HIP_vector_typeIfLj2EEffffjfiS6_IjLj3EEiiiiiiiiiiiliiliiiiil, .Lfunc_end14-_ZL18flash_attn_ext_vecILi128ELi1EL9ggml_type30ELS0_1ELb0EEvPKcS2_S2_S2_S2_PKiPfP15HIP_vector_typeIfLj2EEffffjfiS6_IjLj3EEiiiiiiiiiiiliiliiiiil
                                        ; -- End function
	.section	.AMDGPU.csdata,"",@progbits
; Kernel info:
; codeLenInByte = 9168
; NumSgprs: 56
; NumVgprs: 146
; ScratchSize: 0
; MemoryBound: 0
; FloatMode: 240
; IeeeMode: 1
; LDSByteSize: 4352 bytes/workgroup (compile time only)
; SGPRBlocks: 6
; VGPRBlocks: 18
; NumSGPRsForWavesPerEU: 56
; NumVGPRsForWavesPerEU: 146
; Occupancy: 9
; WaveLimiterHint : 1
; COMPUTE_PGM_RSRC2:SCRATCH_EN: 0
; COMPUTE_PGM_RSRC2:USER_SGPR: 13
; COMPUTE_PGM_RSRC2:TRAP_HANDLER: 0
; COMPUTE_PGM_RSRC2:TGID_X_EN: 1
; COMPUTE_PGM_RSRC2:TGID_Y_EN: 1
; COMPUTE_PGM_RSRC2:TGID_Z_EN: 1
; COMPUTE_PGM_RSRC2:TIDIG_COMP_CNT: 1
	.section	.text._ZL33flash_attn_stream_k_fixup_uniformILi128ELi1ELi1EEvPfPK15HIP_vector_typeIfLj2EEiiiiiiS1_IjLj3EES5_S5_,"axG",@progbits,_ZL33flash_attn_stream_k_fixup_uniformILi128ELi1ELi1EEvPfPK15HIP_vector_typeIfLj2EEiiiiiiS1_IjLj3EES5_S5_,comdat
	.globl	_ZL33flash_attn_stream_k_fixup_uniformILi128ELi1ELi1EEvPfPK15HIP_vector_typeIfLj2EEiiiiiiS1_IjLj3EES5_S5_ ; -- Begin function _ZL33flash_attn_stream_k_fixup_uniformILi128ELi1ELi1EEvPfPK15HIP_vector_typeIfLj2EEiiiiiiS1_IjLj3EES5_S5_
	.p2align	8
	.type	_ZL33flash_attn_stream_k_fixup_uniformILi128ELi1ELi1EEvPfPK15HIP_vector_typeIfLj2EEiiiiiiS1_IjLj3EES5_S5_,@function
_ZL33flash_attn_stream_k_fixup_uniformILi128ELi1ELi1EEvPfPK15HIP_vector_typeIfLj2EEiiiiiiS1_IjLj3EES5_S5_: ; @_ZL33flash_attn_stream_k_fixup_uniformILi128ELi1ELi1EEvPfPK15HIP_vector_typeIfLj2EEiiiiiiS1_IjLj3EES5_S5_
; %bb.0:
	s_clause 0x1
	s_load_b256 s[4:11], s[0:1], 0x1c
	s_load_b128 s[16:19], s[0:1], 0x3c
	s_waitcnt lgkmcnt(0)
	s_mul_hi_u32 s2, s7, s13
	s_delay_alu instid0(SALU_CYCLE_1) | instskip(NEXT) | instid1(SALU_CYCLE_1)
	s_add_i32 s2, s13, s2
	s_lshr_b32 s7, s2, s8
	s_delay_alu instid0(SALU_CYCLE_1) | instskip(SKIP_2) | instid1(SALU_CYCLE_1)
	s_mul_i32 s2, s7, s9
	s_load_b64 s[8:9], s[0:1], 0x10
	s_sub_i32 s2, s13, s2
	s_mul_hi_u32 s3, s2, s10
	s_delay_alu instid0(SALU_CYCLE_1) | instskip(NEXT) | instid1(SALU_CYCLE_1)
	s_add_i32 s3, s2, s3
	s_lshr_b32 s10, s3, s11
	s_delay_alu instid0(SALU_CYCLE_1) | instskip(NEXT) | instid1(SALU_CYCLE_1)
	s_mul_i32 s3, s10, s16
	s_sub_i32 s2, s2, s3
	s_delay_alu instid0(SALU_CYCLE_1) | instskip(NEXT) | instid1(SALU_CYCLE_1)
	s_mul_hi_u32 s3, s2, s17
	s_add_i32 s3, s2, s3
	s_delay_alu instid0(SALU_CYCLE_1) | instskip(NEXT) | instid1(SALU_CYCLE_1)
	s_lshr_b32 s12, s3, s18
	s_mul_i32 s3, s12, s19
	s_delay_alu instid0(SALU_CYCLE_1) | instskip(NEXT) | instid1(SALU_CYCLE_1)
	s_sub_i32 s11, s2, s3
	s_add_i32 s11, s11, s14
	s_waitcnt lgkmcnt(0)
	s_cmp_lt_i32 s11, s8
	s_cselect_b32 s2, -1, 0
	s_add_i32 s12, s12, s15
	s_delay_alu instid0(SALU_CYCLE_1) | instskip(SKIP_1) | instid1(SALU_CYCLE_1)
	s_cmp_lt_i32 s12, s5
	s_cselect_b32 s3, -1, 0
	s_and_b32 s2, s2, s3
	s_delay_alu instid0(SALU_CYCLE_1)
	s_and_not1_b32 vcc_lo, exec_lo, s2
	s_cbranch_vccnz .LBB15_6
; %bb.1:
	s_mul_i32 s7, s7, s8
	s_mul_i32 s10, s10, s5
	s_add_i32 s5, s11, s7
	s_load_b128 s[0:3], s[0:1], 0x0
	s_add_i32 s7, s12, s10
	s_mul_i32 s5, s5, s9
	s_delay_alu instid0(SALU_CYCLE_1) | instskip(SKIP_4) | instid1(SALU_CYCLE_1)
	s_add_i32 s7, s7, s5
	s_mul_i32 s5, s13, s6
	v_lshl_or_b32 v1, s7, 7, v0
	s_add_i32 s7, s14, s15
	s_add_i32 s6, s5, s6
	;; [unrolled: 1-line block ×3, first 2 shown]
	s_delay_alu instid0(VALU_DEP_1) | instskip(NEXT) | instid1(VALU_DEP_1)
	v_ashrrev_i32_e32 v2, 31, v1
	v_lshlrev_b64 v[1:2], 2, v[1:2]
	s_waitcnt lgkmcnt(0)
	s_delay_alu instid0(VALU_DEP_1) | instskip(NEXT) | instid1(VALU_DEP_2)
	v_add_co_u32 v1, vcc_lo, s0, v1
	v_add_co_ci_u32_e32 v2, vcc_lo, s1, v2, vcc_lo
	s_add_i32 s0, s8, -1
	s_delay_alu instid0(SALU_CYCLE_1) | instskip(SKIP_2) | instid1(SALU_CYCLE_1)
	s_ashr_i32 s1, s0, 31
	global_load_b32 v5, v[1:2], off
	s_lshl_b64 s[0:1], s[0:1], 3
	s_add_u32 s0, s2, s0
	s_addc_u32 s1, s3, s1
	s_add_i32 s10, s6, -2
	s_load_b32 s9, s[0:1], 0x4
	s_cmp_lt_i32 s10, s5
	s_cbranch_scc1 .LBB15_4
; %bb.2:
	s_load_b32 s10, s[0:1], 0x0
	v_lshl_or_b32 v0, s8, 7, v0
	s_lshl_b32 s0, s4, 2
	s_waitcnt lgkmcnt(0)
	v_mov_b32_e32 v6, s9
	s_ashr_i32 s1, s0, 31
	s_delay_alu instid0(SALU_CYCLE_1)
	s_lshl_b64 s[0:1], s[0:1], 2
	v_add_nc_u32_e32 v3, 0xffffff00, v0
	s_add_u32 s0, s2, s0
	s_addc_u32 s1, s3, s1
	s_add_i32 s6, s6, -1
	s_add_i32 s4, s7, s4
	v_mov_b32_e32 v0, s10
.LBB15_3:                               ; =>This Inner Loop Header: Depth=1
	s_delay_alu instid0(VALU_DEP_2) | instskip(SKIP_1) | instid1(SALU_CYCLE_1)
	v_ashrrev_i32_e32 v4, 31, v3
	s_add_i32 s6, s6, -1
	s_add_i32 s8, s6, s4
	s_delay_alu instid0(SALU_CYCLE_1) | instskip(NEXT) | instid1(VALU_DEP_1)
	s_ashr_i32 s9, s8, 31
	v_lshlrev_b64 v[7:8], 2, v[3:4]
	s_lshl_b64 s[8:9], s[8:9], 3
	s_delay_alu instid0(SALU_CYCLE_1) | instskip(SKIP_2) | instid1(VALU_DEP_1)
	s_add_u32 s8, s2, s8
	s_addc_u32 s9, s3, s9
	s_cmp_le_i32 s6, s5
	v_add_co_u32 v7, vcc_lo, s0, v7
	v_add_co_ci_u32_e32 v8, vcc_lo, s1, v8, vcc_lo
	s_load_b64 s[8:9], s[8:9], 0x0
	global_load_b32 v4, v[7:8], off
	v_max_f32_e32 v7, v0, v0
	s_waitcnt lgkmcnt(0)
	v_max_f32_e64 v8, s8, s8
	s_delay_alu instid0(VALU_DEP_1) | instskip(NEXT) | instid1(VALU_DEP_1)
	v_max_f32_e32 v7, v7, v8
	v_sub_f32_e32 v8, s8, v7
	s_delay_alu instid0(VALU_DEP_1) | instskip(NEXT) | instid1(VALU_DEP_1)
	v_dual_sub_f32 v0, v0, v7 :: v_dual_mul_f32 v9, 0x3fb8aa3b, v8
	v_fma_f32 v10, 0x3fb8aa3b, v8, -v9
	v_rndne_f32_e32 v11, v9
	s_delay_alu instid0(VALU_DEP_3) | instskip(NEXT) | instid1(VALU_DEP_2)
	v_mul_f32_e32 v12, 0x3fb8aa3b, v0
	v_dual_fmac_f32 v10, 0x32a5705f, v8 :: v_dual_sub_f32 v9, v9, v11
	v_cvt_i32_f32_e32 v11, v11
	s_delay_alu instid0(VALU_DEP_3) | instskip(SKIP_1) | instid1(VALU_DEP_4)
	v_fma_f32 v13, 0x3fb8aa3b, v0, -v12
	v_rndne_f32_e32 v14, v12
	v_add_f32_e32 v9, v9, v10
	v_cmp_ngt_f32_e32 vcc_lo, 0xc2ce8ed0, v8
	s_delay_alu instid0(VALU_DEP_3) | instskip(NEXT) | instid1(VALU_DEP_3)
	v_sub_f32_e32 v10, v12, v14
	v_exp_f32_e32 v9, v9
	s_waitcnt_depctr 0xfff
	v_ldexp_f32 v9, v9, v11
	v_cvt_i32_f32_e32 v11, v14
	s_delay_alu instid0(VALU_DEP_2) | instskip(SKIP_1) | instid1(VALU_DEP_2)
	v_cndmask_b32_e32 v9, 0, v9, vcc_lo
	v_cmp_nlt_f32_e32 vcc_lo, 0x42b17218, v8
	v_cndmask_b32_e32 v9, 0x7f800000, v9, vcc_lo
	v_cmp_ngt_f32_e32 vcc_lo, 0xc2ce8ed0, v0
	v_fmac_f32_e32 v13, 0x32a5705f, v0
	s_delay_alu instid0(VALU_DEP_1) | instskip(NEXT) | instid1(VALU_DEP_1)
	v_add_f32_e32 v10, v10, v13
	v_exp_f32_e32 v10, v10
	s_waitcnt_depctr 0xfff
	v_ldexp_f32 v10, v10, v11
	s_delay_alu instid0(VALU_DEP_1)
	v_dual_mov_b32 v11, v6 :: v_dual_cndmask_b32 v10, 0, v10
	v_cmp_le_f32_e32 vcc_lo, 0xc1a00000, v8
	s_waitcnt vmcnt(1)
	v_dual_cndmask_b32 v8, 0, v9 :: v_dual_mov_b32 v9, v5
	v_cmp_nlt_f32_e32 vcc_lo, 0x42b17218, v0
	v_cndmask_b32_e32 v5, 0x7f800000, v10, vcc_lo
	s_delay_alu instid0(VALU_DEP_3) | instskip(SKIP_2) | instid1(VALU_DEP_3)
	v_mul_f32_e32 v10, s9, v8
	v_cmp_le_f32_e32 vcc_lo, 0xc1a00000, v0
	v_mov_b32_e32 v0, v7
	v_mov_b32_e32 v6, v10
	s_waitcnt vmcnt(0)
	v_dual_cndmask_b32 v12, 0, v5 :: v_dual_mul_f32 v5, v4, v8
	s_delay_alu instid0(VALU_DEP_1) | instskip(NEXT) | instid1(VALU_DEP_2)
	v_dual_fmac_f32 v6, v11, v12 :: v_dual_add_nc_u32 v3, 0xffffff80, v3
	v_fmac_f32_e32 v5, v9, v12
	s_cbranch_scc0 .LBB15_3
	s_branch .LBB15_5
.LBB15_4:
	s_waitcnt lgkmcnt(0)
	v_mov_b32_e32 v6, s9
.LBB15_5:
	s_waitcnt vmcnt(0)
	s_delay_alu instid0(VALU_DEP_1) | instskip(NEXT) | instid1(VALU_DEP_1)
	v_div_scale_f32 v0, null, v6, v6, v5
	v_rcp_f32_e32 v3, v0
	s_waitcnt_depctr 0xfff
	v_fma_f32 v4, -v0, v3, 1.0
	s_delay_alu instid0(VALU_DEP_1) | instskip(SKIP_1) | instid1(VALU_DEP_1)
	v_fmac_f32_e32 v3, v4, v3
	v_div_scale_f32 v4, vcc_lo, v5, v6, v5
	v_mul_f32_e32 v7, v4, v3
	s_delay_alu instid0(VALU_DEP_1) | instskip(NEXT) | instid1(VALU_DEP_1)
	v_fma_f32 v8, -v0, v7, v4
	v_fmac_f32_e32 v7, v8, v3
	s_delay_alu instid0(VALU_DEP_1) | instskip(NEXT) | instid1(VALU_DEP_1)
	v_fma_f32 v0, -v0, v7, v4
	v_div_fmas_f32 v0, v0, v3, v7
	s_delay_alu instid0(VALU_DEP_1)
	v_div_fixup_f32 v0, v0, v6, v5
	global_store_b32 v[1:2], v0, off
.LBB15_6:
	s_nop 0
	s_sendmsg sendmsg(MSG_DEALLOC_VGPRS)
	s_endpgm
	.section	.rodata,"a",@progbits
	.p2align	6, 0x0
	.amdhsa_kernel _ZL33flash_attn_stream_k_fixup_uniformILi128ELi1ELi1EEvPfPK15HIP_vector_typeIfLj2EEiiiiiiS1_IjLj3EES5_S5_
		.amdhsa_group_segment_fixed_size 0
		.amdhsa_private_segment_fixed_size 0
		.amdhsa_kernarg_size 76
		.amdhsa_user_sgpr_count 13
		.amdhsa_user_sgpr_dispatch_ptr 0
		.amdhsa_user_sgpr_queue_ptr 0
		.amdhsa_user_sgpr_kernarg_segment_ptr 1
		.amdhsa_user_sgpr_dispatch_id 0
		.amdhsa_user_sgpr_private_segment_size 0
		.amdhsa_wavefront_size32 1
		.amdhsa_uses_dynamic_stack 0
		.amdhsa_enable_private_segment 0
		.amdhsa_system_sgpr_workgroup_id_x 1
		.amdhsa_system_sgpr_workgroup_id_y 1
		.amdhsa_system_sgpr_workgroup_id_z 1
		.amdhsa_system_sgpr_workgroup_info 0
		.amdhsa_system_vgpr_workitem_id 0
		.amdhsa_next_free_vgpr 15
		.amdhsa_next_free_sgpr 20
		.amdhsa_reserve_vcc 1
		.amdhsa_float_round_mode_32 0
		.amdhsa_float_round_mode_16_64 0
		.amdhsa_float_denorm_mode_32 3
		.amdhsa_float_denorm_mode_16_64 3
		.amdhsa_dx10_clamp 1
		.amdhsa_ieee_mode 1
		.amdhsa_fp16_overflow 0
		.amdhsa_workgroup_processor_mode 1
		.amdhsa_memory_ordered 1
		.amdhsa_forward_progress 0
		.amdhsa_shared_vgpr_count 0
		.amdhsa_exception_fp_ieee_invalid_op 0
		.amdhsa_exception_fp_denorm_src 0
		.amdhsa_exception_fp_ieee_div_zero 0
		.amdhsa_exception_fp_ieee_overflow 0
		.amdhsa_exception_fp_ieee_underflow 0
		.amdhsa_exception_fp_ieee_inexact 0
		.amdhsa_exception_int_div_zero 0
	.end_amdhsa_kernel
	.section	.text._ZL33flash_attn_stream_k_fixup_uniformILi128ELi1ELi1EEvPfPK15HIP_vector_typeIfLj2EEiiiiiiS1_IjLj3EES5_S5_,"axG",@progbits,_ZL33flash_attn_stream_k_fixup_uniformILi128ELi1ELi1EEvPfPK15HIP_vector_typeIfLj2EEiiiiiiS1_IjLj3EES5_S5_,comdat
.Lfunc_end15:
	.size	_ZL33flash_attn_stream_k_fixup_uniformILi128ELi1ELi1EEvPfPK15HIP_vector_typeIfLj2EEiiiiiiS1_IjLj3EES5_S5_, .Lfunc_end15-_ZL33flash_attn_stream_k_fixup_uniformILi128ELi1ELi1EEvPfPK15HIP_vector_typeIfLj2EEiiiiiiS1_IjLj3EES5_S5_
                                        ; -- End function
	.section	.AMDGPU.csdata,"",@progbits
; Kernel info:
; codeLenInByte = 916
; NumSgprs: 22
; NumVgprs: 15
; ScratchSize: 0
; MemoryBound: 0
; FloatMode: 240
; IeeeMode: 1
; LDSByteSize: 0 bytes/workgroup (compile time only)
; SGPRBlocks: 2
; VGPRBlocks: 1
; NumSGPRsForWavesPerEU: 22
; NumVGPRsForWavesPerEU: 15
; Occupancy: 16
; WaveLimiterHint : 0
; COMPUTE_PGM_RSRC2:SCRATCH_EN: 0
; COMPUTE_PGM_RSRC2:USER_SGPR: 13
; COMPUTE_PGM_RSRC2:TRAP_HANDLER: 0
; COMPUTE_PGM_RSRC2:TGID_X_EN: 1
; COMPUTE_PGM_RSRC2:TGID_Y_EN: 1
; COMPUTE_PGM_RSRC2:TGID_Z_EN: 1
; COMPUTE_PGM_RSRC2:TIDIG_COMP_CNT: 0
	.section	.text._ZL33flash_attn_stream_k_fixup_generalILi128ELi1ELi1EEvPfPK15HIP_vector_typeIfLj2EEiiiiS1_IjLj3EES5_S5_S5_,"axG",@progbits,_ZL33flash_attn_stream_k_fixup_generalILi128ELi1ELi1EEvPfPK15HIP_vector_typeIfLj2EEiiiiS1_IjLj3EES5_S5_S5_,comdat
	.globl	_ZL33flash_attn_stream_k_fixup_generalILi128ELi1ELi1EEvPfPK15HIP_vector_typeIfLj2EEiiiiS1_IjLj3EES5_S5_S5_ ; -- Begin function _ZL33flash_attn_stream_k_fixup_generalILi128ELi1ELi1EEvPfPK15HIP_vector_typeIfLj2EEiiiiS1_IjLj3EES5_S5_S5_
	.p2align	8
	.type	_ZL33flash_attn_stream_k_fixup_generalILi128ELi1ELi1EEvPfPK15HIP_vector_typeIfLj2EEiiiiS1_IjLj3EES5_S5_S5_,@function
_ZL33flash_attn_stream_k_fixup_generalILi128ELi1ELi1EEvPfPK15HIP_vector_typeIfLj2EEiiiiS1_IjLj3EES5_S5_S5_: ; @_ZL33flash_attn_stream_k_fixup_generalILi128ELi1ELi1EEvPfPK15HIP_vector_typeIfLj2EEiiiiS1_IjLj3EES5_S5_S5_
; %bb.0:
	s_clause 0x1
	s_load_b128 s[4:7], s[0:1], 0x10
	s_load_b32 s20, s[0:1], 0x50
	s_mov_b32 s2, 0
	s_waitcnt lgkmcnt(0)
	s_mul_hi_i32 s3, s7, s13
	s_mul_i32 s12, s7, s13
	s_cmp_lg_u64 s[2:3], 0
	s_cbranch_scc0 .LBB16_21
; %bb.1:
	v_cvt_f32_ubyte0_e32 v1, 0
	v_cvt_f32_u32_e32 v2, s20
	s_sub_u32 s10, 0, s20
	s_subb_u32 s11, 0, 0
	s_delay_alu instid0(VALU_DEP_1) | instskip(NEXT) | instid1(VALU_DEP_1)
	v_fmamk_f32 v1, v1, 0x4f800000, v2
	v_rcp_f32_e32 v1, v1
	s_waitcnt_depctr 0xfff
	v_mul_f32_e32 v1, 0x5f7ffffc, v1
	s_delay_alu instid0(VALU_DEP_1) | instskip(NEXT) | instid1(VALU_DEP_1)
	v_mul_f32_e32 v2, 0x2f800000, v1
	v_trunc_f32_e32 v2, v2
	s_delay_alu instid0(VALU_DEP_1) | instskip(SKIP_1) | instid1(VALU_DEP_2)
	v_fmamk_f32 v1, v2, 0xcf800000, v1
	v_cvt_u32_f32_e32 v2, v2
	v_cvt_u32_f32_e32 v1, v1
	s_delay_alu instid0(VALU_DEP_2) | instskip(NEXT) | instid1(VALU_DEP_2)
	v_readfirstlane_b32 s8, v2
	v_readfirstlane_b32 s9, v1
	s_delay_alu instid0(VALU_DEP_2) | instskip(NEXT) | instid1(VALU_DEP_1)
	s_mul_i32 s16, s10, s8
	s_mul_hi_u32 s18, s10, s9
	s_mul_i32 s17, s11, s9
	s_add_i32 s16, s18, s16
	s_mul_i32 s19, s10, s9
	s_add_i32 s16, s16, s17
	s_mul_hi_u32 s18, s9, s19
	s_mul_hi_u32 s21, s8, s19
	s_mul_i32 s17, s8, s19
	s_mul_hi_u32 s19, s9, s16
	s_mul_i32 s9, s9, s16
	s_mul_hi_u32 s22, s8, s16
	s_add_u32 s9, s18, s9
	s_addc_u32 s18, 0, s19
	s_add_u32 s9, s9, s17
	s_mul_i32 s16, s8, s16
	s_addc_u32 s9, s18, s21
	s_addc_u32 s17, s22, 0
	s_add_u32 s9, s9, s16
	s_addc_u32 s16, 0, s17
	v_add_co_u32 v1, s9, v1, s9
	s_delay_alu instid0(VALU_DEP_1) | instskip(SKIP_1) | instid1(VALU_DEP_1)
	s_cmp_lg_u32 s9, 0
	s_addc_u32 s8, s8, s16
	v_readfirstlane_b32 s9, v1
	s_mul_i32 s16, s10, s8
	s_delay_alu instid0(VALU_DEP_1)
	s_mul_hi_u32 s17, s10, s9
	s_mul_i32 s11, s11, s9
	s_add_i32 s16, s17, s16
	s_mul_i32 s10, s10, s9
	s_add_i32 s16, s16, s11
	s_mul_hi_u32 s17, s8, s10
	s_mul_i32 s18, s8, s10
	s_mul_hi_u32 s10, s9, s10
	s_mul_hi_u32 s19, s9, s16
	s_mul_i32 s9, s9, s16
	s_mul_hi_u32 s11, s8, s16
	s_add_u32 s9, s10, s9
	s_addc_u32 s10, 0, s19
	s_add_u32 s9, s9, s18
	s_mul_i32 s16, s8, s16
	s_addc_u32 s9, s10, s17
	s_addc_u32 s10, s11, 0
	s_add_u32 s9, s9, s16
	s_addc_u32 s10, 0, s10
	v_add_co_u32 v1, s9, v1, s9
	s_delay_alu instid0(VALU_DEP_1) | instskip(SKIP_2) | instid1(SALU_CYCLE_1)
	s_cmp_lg_u32 s9, 0
	s_addc_u32 s16, s8, s10
	s_ashr_i32 s8, s3, 31
	s_add_u32 s10, s12, s8
	s_addc_u32 s11, s3, s8
	v_readfirstlane_b32 s3, v1
	s_mov_b32 s9, s8
	s_delay_alu instid0(SALU_CYCLE_1) | instskip(NEXT) | instid1(SALU_CYCLE_1)
	s_xor_b64 s[10:11], s[10:11], s[8:9]
	s_mul_i32 s18, s10, s16
	s_delay_alu instid0(VALU_DEP_1)
	s_mul_hi_u32 s19, s10, s3
	s_mul_hi_u32 s17, s10, s16
	;; [unrolled: 1-line block ×3, first 2 shown]
	s_mul_i32 s3, s11, s3
	s_add_u32 s18, s19, s18
	s_addc_u32 s17, 0, s17
	s_mul_hi_u32 s21, s11, s16
	s_add_u32 s3, s18, s3
	s_mul_i32 s16, s11, s16
	s_addc_u32 s3, s17, s22
	s_addc_u32 s17, s21, 0
	s_add_u32 s3, s3, s16
	s_addc_u32 s16, 0, s17
	s_mul_i32 s18, s20, s3
	s_add_u32 s17, s3, 1
	v_sub_co_u32 v1, s10, s10, s18
	s_mul_hi_u32 s18, s20, s3
	s_addc_u32 s19, s16, 0
	s_mul_i32 s21, s20, s16
	s_delay_alu instid0(VALU_DEP_1)
	v_sub_co_u32 v2, s22, v1, s20
	s_add_u32 s23, s3, 2
	s_addc_u32 s24, s16, 0
	s_add_i32 s18, s18, s21
	s_cmp_lg_u32 s10, 0
	v_readfirstlane_b32 s10, v2
	s_subb_u32 s11, s11, s18
	s_cmp_lg_u32 s22, 0
	s_subb_u32 s18, s11, 0
	s_delay_alu instid0(VALU_DEP_1) | instskip(SKIP_4) | instid1(SALU_CYCLE_1)
	s_cmp_ge_u32 s10, s20
	s_cselect_b32 s10, -1, 0
	s_cmp_eq_u32 s18, 0
	v_readfirstlane_b32 s18, v1
	s_cselect_b32 s10, s10, -1
	s_cmp_lg_u32 s10, 0
	s_cselect_b32 s10, s23, s17
	s_cselect_b32 s17, s24, s19
	s_cmp_ge_u32 s18, s20
	s_cselect_b32 s18, -1, 0
	s_cmp_eq_u32 s11, 0
	s_cselect_b32 s11, s18, -1
	s_delay_alu instid0(SALU_CYCLE_1) | instskip(SKIP_2) | instid1(SALU_CYCLE_1)
	s_cmp_lg_u32 s11, 0
	s_cselect_b32 s11, s17, s16
	s_cselect_b32 s10, s10, s3
	s_xor_b64 s[10:11], s[10:11], s[8:9]
	s_delay_alu instid0(SALU_CYCLE_1)
	s_sub_u32 s16, s10, s8
	s_load_b128 s[8:11], s[0:1], 0x44
	s_and_not1_b32 vcc_lo, exec_lo, s2
	s_cbranch_vccnz .LBB16_3
.LBB16_2:
	v_cvt_f32_u32_e32 v1, s20
	s_sub_i32 s3, 0, s20
	s_delay_alu instid0(VALU_DEP_1) | instskip(SKIP_2) | instid1(VALU_DEP_1)
	v_rcp_iflag_f32_e32 v1, v1
	s_waitcnt_depctr 0xfff
	v_mul_f32_e32 v1, 0x4f7ffffe, v1
	v_cvt_u32_f32_e32 v1, v1
	s_delay_alu instid0(VALU_DEP_1) | instskip(NEXT) | instid1(VALU_DEP_1)
	v_readfirstlane_b32 s2, v1
	s_mul_i32 s3, s3, s2
	s_delay_alu instid0(SALU_CYCLE_1) | instskip(NEXT) | instid1(SALU_CYCLE_1)
	s_mul_hi_u32 s3, s2, s3
	s_add_i32 s2, s2, s3
	s_delay_alu instid0(SALU_CYCLE_1) | instskip(NEXT) | instid1(SALU_CYCLE_1)
	s_mul_hi_u32 s2, s12, s2
	s_mul_i32 s3, s2, s20
	s_waitcnt lgkmcnt(0)
	s_add_i32 s11, s2, 1
	s_sub_i32 s3, s12, s3
	s_delay_alu instid0(SALU_CYCLE_1)
	s_sub_i32 s12, s3, s20
	s_cmp_ge_u32 s3, s20
	s_cselect_b32 s2, s11, s2
	s_cselect_b32 s3, s12, s3
	s_add_i32 s11, s2, 1
	s_cmp_ge_u32 s3, s20
	s_cselect_b32 s16, s11, s2
.LBB16_3:
	s_waitcnt lgkmcnt(0)
	s_add_i32 s11, s13, 1
	s_mov_b32 s2, 0
	s_mul_hi_i32 s3, s7, s11
	s_mul_i32 s11, s7, s11
	s_cmp_lg_u64 s[2:3], 0
	s_cbranch_scc0 .LBB16_22
; %bb.4:
	v_cvt_f32_ubyte0_e32 v1, 0
	v_cvt_f32_u32_e32 v2, s20
	s_sub_u32 s18, 0, s20
	s_subb_u32 s19, 0, 0
	s_delay_alu instid0(VALU_DEP_1) | instskip(NEXT) | instid1(VALU_DEP_1)
	v_fmamk_f32 v1, v1, 0x4f800000, v2
	v_rcp_f32_e32 v1, v1
	s_waitcnt_depctr 0xfff
	v_mul_f32_e32 v1, 0x5f7ffffc, v1
	s_delay_alu instid0(VALU_DEP_1) | instskip(NEXT) | instid1(VALU_DEP_1)
	v_mul_f32_e32 v2, 0x2f800000, v1
	v_trunc_f32_e32 v2, v2
	s_delay_alu instid0(VALU_DEP_1) | instskip(SKIP_1) | instid1(VALU_DEP_2)
	v_fmamk_f32 v1, v2, 0xcf800000, v1
	v_cvt_u32_f32_e32 v2, v2
	v_cvt_u32_f32_e32 v1, v1
	s_delay_alu instid0(VALU_DEP_2) | instskip(NEXT) | instid1(VALU_DEP_2)
	v_readfirstlane_b32 s12, v2
	v_readfirstlane_b32 s17, v1
	s_delay_alu instid0(VALU_DEP_2) | instskip(NEXT) | instid1(VALU_DEP_1)
	s_mul_i32 s21, s18, s12
	s_mul_hi_u32 s23, s18, s17
	s_mul_i32 s22, s19, s17
	s_add_i32 s21, s23, s21
	s_mul_i32 s24, s18, s17
	s_add_i32 s21, s21, s22
	s_mul_hi_u32 s23, s17, s24
	s_mul_hi_u32 s25, s12, s24
	s_mul_i32 s22, s12, s24
	s_mul_hi_u32 s24, s17, s21
	s_mul_i32 s17, s17, s21
	s_mul_hi_u32 s26, s12, s21
	s_add_u32 s17, s23, s17
	s_addc_u32 s23, 0, s24
	s_add_u32 s17, s17, s22
	s_mul_i32 s21, s12, s21
	s_addc_u32 s17, s23, s25
	s_addc_u32 s22, s26, 0
	s_add_u32 s17, s17, s21
	s_addc_u32 s21, 0, s22
	v_add_co_u32 v1, s17, v1, s17
	s_delay_alu instid0(VALU_DEP_1) | instskip(SKIP_1) | instid1(VALU_DEP_1)
	s_cmp_lg_u32 s17, 0
	s_addc_u32 s12, s12, s21
	v_readfirstlane_b32 s17, v1
	s_mul_i32 s21, s18, s12
	s_delay_alu instid0(VALU_DEP_1)
	s_mul_hi_u32 s22, s18, s17
	s_mul_i32 s19, s19, s17
	s_add_i32 s21, s22, s21
	s_mul_i32 s18, s18, s17
	s_add_i32 s21, s21, s19
	s_mul_hi_u32 s22, s12, s18
	s_mul_i32 s23, s12, s18
	s_mul_hi_u32 s18, s17, s18
	s_mul_hi_u32 s24, s17, s21
	s_mul_i32 s17, s17, s21
	s_mul_hi_u32 s19, s12, s21
	s_add_u32 s17, s18, s17
	s_addc_u32 s18, 0, s24
	s_add_u32 s17, s17, s23
	s_mul_i32 s21, s12, s21
	s_addc_u32 s17, s18, s22
	s_addc_u32 s18, s19, 0
	s_add_u32 s17, s17, s21
	s_addc_u32 s18, 0, s18
	v_add_co_u32 v1, s17, v1, s17
	s_delay_alu instid0(VALU_DEP_1) | instskip(SKIP_2) | instid1(SALU_CYCLE_1)
	s_cmp_lg_u32 s17, 0
	s_addc_u32 s12, s12, s18
	s_ashr_i32 s18, s3, 31
	s_add_u32 s22, s11, s18
	s_addc_u32 s23, s3, s18
	v_readfirstlane_b32 s3, v1
	s_mov_b32 s19, s18
	s_delay_alu instid0(SALU_CYCLE_1) | instskip(NEXT) | instid1(SALU_CYCLE_1)
	s_xor_b64 s[22:23], s[22:23], s[18:19]
	s_mul_i32 s21, s22, s12
	s_delay_alu instid0(VALU_DEP_1)
	s_mul_hi_u32 s24, s22, s3
	s_mul_hi_u32 s17, s22, s12
	;; [unrolled: 1-line block ×3, first 2 shown]
	s_mul_i32 s3, s23, s3
	s_add_u32 s21, s24, s21
	s_addc_u32 s17, 0, s17
	s_mul_hi_u32 s25, s23, s12
	s_add_u32 s3, s21, s3
	s_mul_i32 s12, s23, s12
	s_addc_u32 s3, s17, s26
	s_addc_u32 s17, s25, 0
	s_add_u32 s3, s3, s12
	s_addc_u32 s12, 0, s17
	s_mul_i32 s21, s20, s3
	s_add_u32 s17, s3, 1
	v_sub_co_u32 v1, s21, s22, s21
	s_mul_hi_u32 s22, s20, s3
	s_addc_u32 s24, s12, 0
	s_mul_i32 s25, s20, s12
	s_delay_alu instid0(VALU_DEP_1)
	v_sub_co_u32 v2, s26, v1, s20
	s_add_u32 s27, s3, 2
	s_addc_u32 s28, s12, 0
	s_add_i32 s22, s22, s25
	s_cmp_lg_u32 s21, 0
	v_readfirstlane_b32 s21, v2
	s_subb_u32 s22, s23, s22
	s_cmp_lg_u32 s26, 0
	s_subb_u32 s23, s22, 0
	s_delay_alu instid0(VALU_DEP_1) | instskip(SKIP_4) | instid1(SALU_CYCLE_1)
	s_cmp_ge_u32 s21, s20
	s_cselect_b32 s21, -1, 0
	s_cmp_eq_u32 s23, 0
	v_readfirstlane_b32 s23, v1
	s_cselect_b32 s21, s21, -1
	s_cmp_lg_u32 s21, 0
	s_cselect_b32 s17, s27, s17
	s_cselect_b32 s21, s28, s24
	s_cmp_ge_u32 s23, s20
	s_cselect_b32 s23, -1, 0
	s_cmp_eq_u32 s22, 0
	s_cselect_b32 s22, s23, -1
	s_delay_alu instid0(SALU_CYCLE_1) | instskip(SKIP_2) | instid1(SALU_CYCLE_1)
	s_cmp_lg_u32 s22, 0
	s_cselect_b32 s23, s21, s12
	s_cselect_b32 s22, s17, s3
	s_xor_b64 s[22:23], s[22:23], s[18:19]
	s_delay_alu instid0(SALU_CYCLE_1)
	s_sub_u32 s18, s22, s18
	s_and_not1_b32 vcc_lo, exec_lo, s2
	s_cbranch_vccnz .LBB16_6
.LBB16_5:
	v_cvt_f32_u32_e32 v1, s20
	s_sub_i32 s3, 0, s20
	s_delay_alu instid0(VALU_DEP_1) | instskip(SKIP_2) | instid1(VALU_DEP_1)
	v_rcp_iflag_f32_e32 v1, v1
	s_waitcnt_depctr 0xfff
	v_mul_f32_e32 v1, 0x4f7ffffe, v1
	v_cvt_u32_f32_e32 v1, v1
	s_delay_alu instid0(VALU_DEP_1) | instskip(NEXT) | instid1(VALU_DEP_1)
	v_readfirstlane_b32 s2, v1
	s_mul_i32 s3, s3, s2
	s_delay_alu instid0(SALU_CYCLE_1) | instskip(NEXT) | instid1(SALU_CYCLE_1)
	s_mul_hi_u32 s3, s2, s3
	s_add_i32 s2, s2, s3
	s_delay_alu instid0(SALU_CYCLE_1) | instskip(NEXT) | instid1(SALU_CYCLE_1)
	s_mul_hi_u32 s2, s11, s2
	s_mul_i32 s3, s2, s20
	s_delay_alu instid0(SALU_CYCLE_1)
	s_sub_i32 s3, s11, s3
	s_add_i32 s11, s2, 1
	s_sub_i32 s12, s3, s20
	s_cmp_ge_u32 s3, s20
	s_cselect_b32 s2, s11, s2
	s_cselect_b32 s3, s12, s3
	s_add_i32 s11, s2, 1
	s_cmp_ge_u32 s3, s20
	s_cselect_b32 s18, s11, s2
.LBB16_6:
	s_delay_alu instid0(SALU_CYCLE_1) | instskip(SKIP_3) | instid1(SALU_CYCLE_1)
	s_cmp_eq_u32 s16, s18
	s_mul_hi_u32 s2, s16, s8
	s_cselect_b32 s3, -1, 0
	s_add_i32 s2, s2, s16
	s_lshr_b32 s11, s2, s9
	s_delay_alu instid0(SALU_CYCLE_1) | instskip(NEXT) | instid1(SALU_CYCLE_1)
	s_mul_i32 s2, s11, s10
	s_cmp_eq_u32 s2, s16
	s_mul_hi_u32 s2, s18, s8
	s_cselect_b32 s12, -1, 0
	s_add_i32 s2, s2, s18
	s_delay_alu instid0(SALU_CYCLE_1) | instskip(NEXT) | instid1(SALU_CYCLE_1)
	s_lshr_b32 s2, s2, s9
	s_cmp_eq_u32 s11, s2
	s_mul_i32 s2, s2, s10
	s_cselect_b32 s17, -1, 0
	s_cmp_lg_u32 s2, s18
	s_cselect_b32 s2, -1, 0
	s_or_b32 s3, s3, s12
	s_and_b32 s2, s17, s2
	s_delay_alu instid0(SALU_CYCLE_1) | instskip(NEXT) | instid1(SALU_CYCLE_1)
	s_or_b32 s2, s3, s2
	s_and_b32 vcc_lo, exec_lo, s2
	s_cbranch_vccnz .LBB16_24
; %bb.7:
	s_load_b256 s[24:31], s[0:1], 0x20
	s_waitcnt lgkmcnt(0)
	s_mul_hi_u32 s2, s16, s24
	s_delay_alu instid0(SALU_CYCLE_1) | instskip(NEXT) | instid1(SALU_CYCLE_1)
	s_add_i32 s2, s2, s16
	s_lshr_b32 s17, s2, s25
	s_load_b32 s2, s[0:1], 0x40
	s_mul_i32 s3, s17, s26
	s_delay_alu instid0(SALU_CYCLE_1) | instskip(NEXT) | instid1(SALU_CYCLE_1)
	s_sub_i32 s3, s16, s3
	s_mul_hi_u32 s12, s3, s27
	s_delay_alu instid0(SALU_CYCLE_1) | instskip(NEXT) | instid1(SALU_CYCLE_1)
	s_add_i32 s12, s3, s12
	s_lshr_b32 s18, s12, s28
	s_delay_alu instid0(SALU_CYCLE_1) | instskip(NEXT) | instid1(SALU_CYCLE_1)
	s_mul_i32 s12, s18, s29
	s_sub_i32 s3, s3, s12
	s_delay_alu instid0(SALU_CYCLE_1) | instskip(NEXT) | instid1(SALU_CYCLE_1)
	s_mul_hi_u32 s12, s3, s30
	s_add_i32 s12, s3, s12
	s_delay_alu instid0(SALU_CYCLE_1) | instskip(SKIP_3) | instid1(SALU_CYCLE_1)
	s_lshr_b32 s21, s12, s31
	s_mov_b32 s12, 0
	s_waitcnt lgkmcnt(0)
	s_mul_i32 s2, s21, s2
	s_sub_i32 s2, s3, s2
	s_delay_alu instid0(SALU_CYCLE_1) | instskip(NEXT) | instid1(SALU_CYCLE_1)
	s_mul_hi_u32 s3, s2, s8
	s_add_i32 s2, s2, s3
	s_delay_alu instid0(SALU_CYCLE_1) | instskip(NEXT) | instid1(SALU_CYCLE_1)
	s_lshr_b32 s19, s2, s9
	s_add_i32 s19, s19, s14
	s_delay_alu instid0(SALU_CYCLE_1) | instskip(SKIP_2) | instid1(SALU_CYCLE_1)
	s_cmp_lt_i32 s19, s4
	s_cselect_b32 s2, -1, 0
	s_add_i32 s21, s21, s15
	s_cmp_lt_i32 s21, s6
	s_cselect_b32 s3, -1, 0
	s_delay_alu instid0(SALU_CYCLE_1) | instskip(NEXT) | instid1(SALU_CYCLE_1)
	s_and_b32 s2, s2, s3
	s_and_not1_b32 vcc_lo, exec_lo, s2
	s_cbranch_vccnz .LBB16_24
; %bb.8:
	s_load_b128 s[0:3], s[0:1], 0x0
	s_lshl_b32 s22, s20, 2
	s_mov_b32 s23, s12
	s_add_i32 s14, s14, s15
	s_lshl_b64 s[22:23], s[22:23], 2
	s_mul_i32 s17, s17, s4
	s_mul_i32 s18, s18, s6
	v_cvt_f32_ubyte0_e32 v4, 0
	v_cvt_f32_u32_e32 v5, s20
	s_waitcnt lgkmcnt(0)
	s_add_u32 s6, s2, s22
	s_addc_u32 s15, s3, s23
	s_add_i32 s4, s19, s17
	s_add_i32 s17, s21, s18
	s_mul_i32 s4, s4, s5
	s_delay_alu instid0(SALU_CYCLE_1) | instskip(NEXT) | instid1(SALU_CYCLE_1)
	s_add_i32 s17, s17, s4
	v_lshl_or_b32 v1, s17, 7, v0
	s_delay_alu instid0(VALU_DEP_1) | instskip(NEXT) | instid1(VALU_DEP_1)
	v_ashrrev_i32_e32 v2, 31, v1
	v_lshlrev_b64 v[1:2], 2, v[1:2]
	s_delay_alu instid0(VALU_DEP_1) | instskip(NEXT) | instid1(VALU_DEP_2)
	v_add_co_u32 v1, vcc_lo, s0, v1
	v_add_co_ci_u32_e32 v2, vcc_lo, s1, v2, vcc_lo
	s_add_i32 s0, s14, s13
	s_delay_alu instid0(SALU_CYCLE_1) | instskip(SKIP_2) | instid1(SALU_CYCLE_1)
	s_ashr_i32 s1, s0, 31
	global_load_b32 v3, v[1:2], off
	s_lshl_b64 s[0:1], s[0:1], 3
	s_add_u32 s0, s2, s0
	s_addc_u32 s1, s3, s1
	s_add_i32 s18, s13, -1
	s_load_b64 s[0:1], s[0:1], 0x0
	v_fmac_f32_e32 v5, 0x4f800000, v4
	s_sub_i32 s17, 0, s20
	s_waitcnt lgkmcnt(0)
	v_mov_b32_e32 v8, s0
	s_delay_alu instid0(VALU_DEP_2) | instskip(SKIP_2) | instid1(VALU_DEP_2)
	v_rcp_f32_e32 v4, v5
	v_cvt_f32_u32_e32 v5, s20
	v_mov_b32_e32 v7, s1
	v_rcp_iflag_f32_e32 v5, v5
	s_waitcnt_depctr 0xfff
	v_mul_f32_e32 v4, 0x5f7ffffc, v4
	s_delay_alu instid0(VALU_DEP_1) | instskip(SKIP_1) | instid1(VALU_DEP_2)
	v_mul_f32_e32 v6, 0x2f800000, v4
	v_mul_f32_e32 v9, 0x4f7ffffe, v5
	v_trunc_f32_e32 v6, v6
	s_delay_alu instid0(VALU_DEP_1) | instskip(SKIP_1) | instid1(VALU_DEP_4)
	v_fmac_f32_e32 v4, 0xcf800000, v6
	v_cvt_u32_f32_e32 v5, v6
	v_cvt_u32_f32_e32 v6, v9
	s_delay_alu instid0(VALU_DEP_3)
	v_cvt_u32_f32_e32 v4, v4
.LBB16_9:                               ; =>This Inner Loop Header: Depth=1
	s_mul_hi_i32 s13, s18, s7
	s_mul_i32 s4, s18, s7
	s_cmp_lg_u64 s[12:13], 0
	s_mov_b32 s5, -1
                                        ; implicit-def: $sgpr0_sgpr1
	s_cbranch_scc0 .LBB16_11
; %bb.10:                               ;   in Loop: Header=BB16_9 Depth=1
	v_readfirstlane_b32 s0, v4
	v_readfirstlane_b32 s1, v5
	s_sub_u32 s5, 0, s20
	s_subb_u32 s19, 0, 0
	s_delay_alu instid0(VALU_DEP_2) | instskip(NEXT) | instid1(VALU_DEP_1)
	s_mul_hi_u32 s21, s5, s0
	s_mul_i32 s22, s5, s1
	s_mul_i32 s23, s19, s0
	s_add_i32 s21, s21, s22
	s_mul_i32 s22, s5, s0
	s_add_i32 s21, s21, s23
	s_mul_hi_u32 s23, s0, s22
	s_mul_i32 s24, s0, s21
	s_mul_hi_u32 s0, s0, s21
	s_add_u32 s23, s23, s24
	s_mul_i32 s25, s1, s22
	s_addc_u32 s0, 0, s0
	s_mul_hi_u32 s22, s1, s22
	s_mul_hi_u32 s24, s1, s21
	s_add_u32 s23, s23, s25
	s_addc_u32 s0, s0, s22
	s_mul_i32 s21, s1, s21
	s_addc_u32 s22, s24, 0
	s_add_u32 s0, s0, s21
	s_addc_u32 s21, 0, s22
	v_add_co_u32 v9, s0, v4, s0
	s_delay_alu instid0(VALU_DEP_1) | instskip(SKIP_1) | instid1(VALU_DEP_1)
	s_cmp_lg_u32 s0, 0
	s_addc_u32 s1, s1, s21
	v_readfirstlane_b32 s0, v9
	s_mul_i32 s21, s5, s1
	s_delay_alu instid0(VALU_DEP_1)
	s_mul_hi_u32 s22, s5, s0
	s_mul_i32 s19, s19, s0
	s_add_i32 s21, s22, s21
	s_mul_i32 s5, s5, s0
	s_add_i32 s21, s21, s19
	s_mul_hi_u32 s19, s1, s5
	s_mul_i32 s23, s1, s5
	s_mul_i32 s24, s0, s21
	s_mul_hi_u32 s5, s0, s5
	s_mul_hi_u32 s0, s0, s21
	s_add_u32 s5, s5, s24
	s_addc_u32 s0, 0, s0
	s_mul_hi_u32 s22, s1, s21
	s_add_u32 s5, s5, s23
	s_addc_u32 s0, s0, s19
	s_mul_i32 s5, s1, s21
	s_addc_u32 s19, s22, 0
	s_add_u32 s0, s0, s5
	s_addc_u32 s5, 0, s19
	v_add_co_u32 v9, s0, v9, s0
	s_delay_alu instid0(VALU_DEP_1) | instskip(SKIP_2) | instid1(SALU_CYCLE_1)
	s_cmp_lg_u32 s0, 0
	s_addc_u32 s5, s1, s5
	s_ashr_i32 s0, s13, 31
	s_add_u32 s22, s4, s0
	s_addc_u32 s23, s13, s0
	v_readfirstlane_b32 s13, v9
	s_mov_b32 s1, s0
	s_delay_alu instid0(SALU_CYCLE_1) | instskip(NEXT) | instid1(SALU_CYCLE_1)
	s_xor_b64 s[22:23], s[22:23], s[0:1]
	s_mul_i32 s19, s22, s5
	s_delay_alu instid0(VALU_DEP_1)
	s_mul_hi_u32 s21, s22, s13
	s_mul_hi_u32 s24, s22, s5
	s_add_u32 s19, s21, s19
	s_mul_i32 s25, s23, s13
	s_addc_u32 s21, 0, s24
	s_mul_hi_u32 s13, s23, s13
	s_mul_hi_u32 s24, s23, s5
	s_add_u32 s19, s19, s25
	s_addc_u32 s13, s21, s13
	s_mul_i32 s5, s23, s5
	s_addc_u32 s19, s24, 0
	s_add_u32 s5, s13, s5
	s_addc_u32 s13, 0, s19
	s_mul_i32 s21, s20, s5
	s_add_u32 s19, s5, 1
	v_sub_co_u32 v9, s21, s22, s21
	s_addc_u32 s22, s13, 0
	s_mul_i32 s25, s20, s13
	s_mul_hi_u32 s27, s20, s5
	s_delay_alu instid0(VALU_DEP_1)
	v_sub_co_u32 v10, s26, v9, s20
	s_add_u32 s24, s5, 2
	s_addc_u32 s28, s13, 0
	s_add_i32 s27, s27, s25
	s_cmp_lg_u32 s21, 0
	v_readfirstlane_b32 s21, v10
	s_subb_u32 s23, s23, s27
	s_cmp_lg_u32 s26, 0
	s_subb_u32 s25, s23, 0
	s_delay_alu instid0(VALU_DEP_1) | instskip(SKIP_4) | instid1(SALU_CYCLE_1)
	s_cmp_ge_u32 s21, s20
	s_cselect_b32 s21, -1, 0
	s_cmp_eq_u32 s25, 0
	v_readfirstlane_b32 s25, v9
	s_cselect_b32 s21, s21, -1
	s_cmp_lg_u32 s21, 0
	s_cselect_b32 s19, s24, s19
	s_cselect_b32 s21, s28, s22
	s_cmp_ge_u32 s25, s20
	s_cselect_b32 s22, -1, 0
	s_cmp_eq_u32 s23, 0
	s_cselect_b32 s22, s22, -1
	s_delay_alu instid0(SALU_CYCLE_1) | instskip(SKIP_4) | instid1(SALU_CYCLE_1)
	s_cmp_lg_u32 s22, 0
	s_cselect_b32 s23, s21, s13
	s_cselect_b32 s22, s19, s5
	s_mov_b32 s5, 0
	s_xor_b64 s[22:23], s[22:23], s[0:1]
	s_sub_u32 s0, s22, s0
.LBB16_11:                              ;   in Loop: Header=BB16_9 Depth=1
	s_and_not1_b32 vcc_lo, exec_lo, s5
	s_cbranch_vccnz .LBB16_13
; %bb.12:                               ;   in Loop: Header=BB16_9 Depth=1
	v_readfirstlane_b32 s0, v6
	s_delay_alu instid0(VALU_DEP_1) | instskip(NEXT) | instid1(SALU_CYCLE_1)
	s_mul_i32 s1, s17, s0
	s_mul_hi_u32 s1, s0, s1
	s_delay_alu instid0(SALU_CYCLE_1) | instskip(NEXT) | instid1(SALU_CYCLE_1)
	s_add_i32 s0, s0, s1
	s_mul_hi_u32 s0, s4, s0
	s_delay_alu instid0(SALU_CYCLE_1) | instskip(NEXT) | instid1(SALU_CYCLE_1)
	s_mul_i32 s1, s0, s20
	s_sub_i32 s1, s4, s1
	s_add_i32 s4, s0, 1
	s_sub_i32 s5, s1, s20
	s_cmp_ge_u32 s1, s20
	s_cselect_b32 s0, s4, s0
	s_cselect_b32 s1, s5, s1
	s_add_i32 s4, s0, 1
	s_cmp_ge_u32 s1, s20
	s_cselect_b32 s0, s4, s0
.LBB16_13:                              ;   in Loop: Header=BB16_9 Depth=1
	s_delay_alu instid0(SALU_CYCLE_1)
	s_cmp_lg_u32 s16, s0
	s_cbranch_scc0 .LBB16_17
; %bb.14:                               ;   in Loop: Header=BB16_9 Depth=1
	s_add_i32 s21, s18, s14
	s_mov_b32 s5, s12
	s_add_i32 s4, s21, s20
	s_mul_hi_u32 s1, s0, s8
	s_lshl_b64 s[4:5], s[4:5], 3
	s_mov_b32 s19, s16
	s_add_u32 s4, s2, s4
	s_addc_u32 s5, s3, s5
	s_add_i32 s1, s1, s0
	s_delay_alu instid0(SALU_CYCLE_1) | instskip(NEXT) | instid1(SALU_CYCLE_1)
	s_lshr_b32 s1, s1, s9
	s_mul_i32 s13, s1, s10
	s_delay_alu instid0(SALU_CYCLE_1) | instskip(SKIP_3) | instid1(SALU_CYCLE_1)
	s_cmp_eq_u32 s13, s0
	s_cselect_b32 s13, -1, 0
	s_cmp_lt_u32 s1, s11
	s_cselect_b32 s1, -1, 0
	s_or_b32 s1, s1, s13
	s_mov_b32 s13, -1
	s_and_b32 vcc_lo, exec_lo, s1
	s_mov_b32 s1, s18
	s_cbranch_vccnz .LBB16_16
; %bb.15:                               ;   in Loop: Header=BB16_9 Depth=1
	s_add_i32 s1, s18, -1
	s_mov_b32 s13, 0
	s_mov_b32 s19, s0
.LBB16_16:                              ;   in Loop: Header=BB16_9 Depth=1
	v_lshl_or_b32 v9, s21, 7, v0
	s_load_b64 s[4:5], s[4:5], 0x0
	s_delay_alu instid0(VALU_DEP_1) | instskip(NEXT) | instid1(VALU_DEP_1)
	v_ashrrev_i32_e32 v10, 31, v9
	v_lshlrev_b64 v[9:10], 2, v[9:10]
	s_delay_alu instid0(VALU_DEP_1) | instskip(NEXT) | instid1(VALU_DEP_2)
	v_add_co_u32 v9, vcc_lo, s6, v9
	v_add_co_ci_u32_e32 v10, vcc_lo, s15, v10, vcc_lo
	s_waitcnt lgkmcnt(0)
	v_max_f32_e64 v11, s4, s4
	global_load_b32 v10, v[9:10], off
	v_max_f32_e32 v9, v8, v8
	s_delay_alu instid0(VALU_DEP_1) | instskip(NEXT) | instid1(VALU_DEP_1)
	v_max_f32_e32 v9, v9, v11
	v_sub_f32_e32 v12, v8, v9
	s_delay_alu instid0(VALU_DEP_1) | instskip(NEXT) | instid1(VALU_DEP_1)
	v_dual_mul_f32 v14, 0x3fb8aa3b, v12 :: v_dual_sub_f32 v11, s4, v9
	v_rndne_f32_e32 v18, v14
	s_delay_alu instid0(VALU_DEP_2) | instskip(SKIP_2) | instid1(VALU_DEP_4)
	v_mul_f32_e32 v13, 0x3fb8aa3b, v11
	v_fma_f32 v17, 0x3fb8aa3b, v12, -v14
	v_cmp_ngt_f32_e32 vcc_lo, 0xc2ce8ed0, v11
	v_sub_f32_e32 v14, v14, v18
	s_delay_alu instid0(VALU_DEP_4) | instskip(SKIP_2) | instid1(VALU_DEP_3)
	v_fma_f32 v15, 0x3fb8aa3b, v11, -v13
	v_rndne_f32_e32 v16, v13
	v_fmac_f32_e32 v17, 0x32a5705f, v12
	v_fmac_f32_e32 v15, 0x32a5705f, v11
	s_delay_alu instid0(VALU_DEP_2) | instskip(NEXT) | instid1(VALU_DEP_1)
	v_dual_sub_f32 v13, v13, v16 :: v_dual_add_f32 v14, v14, v17
	v_add_f32_e32 v13, v13, v15
	s_delay_alu instid0(VALU_DEP_2) | instskip(SKIP_2) | instid1(VALU_DEP_3)
	v_exp_f32_e32 v14, v14
	v_cvt_i32_f32_e32 v15, v16
	v_cvt_i32_f32_e32 v16, v18
	v_exp_f32_e32 v13, v13
	s_waitcnt_depctr 0xfff
	v_ldexp_f32 v14, v14, v16
	v_ldexp_f32 v13, v13, v15
	s_delay_alu instid0(VALU_DEP_1) | instskip(SKIP_1) | instid1(VALU_DEP_4)
	v_cndmask_b32_e32 v13, 0, v13, vcc_lo
	v_cmp_ngt_f32_e32 vcc_lo, 0xc2ce8ed0, v12
	v_cndmask_b32_e32 v14, 0, v14, vcc_lo
	v_cmp_nlt_f32_e32 vcc_lo, 0x42b17218, v11
	s_delay_alu instid0(VALU_DEP_4) | instskip(SKIP_1) | instid1(VALU_DEP_4)
	v_cndmask_b32_e32 v13, 0x7f800000, v13, vcc_lo
	v_cmp_nlt_f32_e32 vcc_lo, 0x42b17218, v12
	v_cndmask_b32_e32 v14, 0x7f800000, v14, vcc_lo
	v_cmp_le_f32_e32 vcc_lo, 0xc1a00000, v11
	s_delay_alu instid0(VALU_DEP_4) | instskip(SKIP_1) | instid1(VALU_DEP_4)
	v_cndmask_b32_e32 v11, 0, v13, vcc_lo
	v_cmp_le_f32_e32 vcc_lo, 0xc1a00000, v12
	v_cndmask_b32_e32 v12, 0, v14, vcc_lo
	s_waitcnt vmcnt(0)
	s_delay_alu instid0(VALU_DEP_3) | instskip(NEXT) | instid1(VALU_DEP_1)
	v_mul_f32_e32 v10, v10, v11
	v_dual_mul_f32 v11, s5, v11 :: v_dual_fmac_f32 v10, v3, v12
	s_delay_alu instid0(VALU_DEP_1)
	v_fmac_f32_e32 v11, v7, v12
	s_cbranch_execz .LBB16_18
	s_branch .LBB16_19
.LBB16_17:                              ;   in Loop: Header=BB16_9 Depth=1
                                        ; implicit-def: $sgpr13
                                        ; implicit-def: $vgpr10
                                        ; implicit-def: $vgpr9
                                        ; implicit-def: $vgpr11
                                        ; implicit-def: $sgpr1
                                        ; implicit-def: $sgpr19
.LBB16_18:                              ;   in Loop: Header=BB16_9 Depth=1
	v_mov_b32_e32 v11, v7
	s_waitcnt vmcnt(0)
	v_dual_mov_b32 v9, v8 :: v_dual_mov_b32 v10, v3
	s_add_i32 s1, s18, -1
	s_mov_b32 s13, 0
	s_mov_b32 s19, s16
.LBB16_19:                              ;   in Loop: Header=BB16_9 Depth=1
	s_and_not1_b32 vcc_lo, exec_lo, s13
	s_cbranch_vccz .LBB16_23
; %bb.20:                               ;   in Loop: Header=BB16_9 Depth=1
	v_dual_mov_b32 v7, v11 :: v_dual_mov_b32 v8, v9
	s_waitcnt vmcnt(0)
	v_mov_b32_e32 v3, v10
	s_mov_b32 s16, s19
	s_mov_b32 s18, s1
	s_branch .LBB16_9
.LBB16_21:
                                        ; implicit-def: $sgpr16_sgpr17
	s_load_b128 s[8:11], s[0:1], 0x44
	s_branch .LBB16_2
.LBB16_22:
                                        ; implicit-def: $sgpr18_sgpr19
	s_branch .LBB16_5
.LBB16_23:
	v_div_scale_f32 v0, null, v11, v11, v10
	s_waitcnt vmcnt(0)
	s_delay_alu instid0(VALU_DEP_1) | instskip(SKIP_2) | instid1(VALU_DEP_1)
	v_rcp_f32_e32 v3, v0
	s_waitcnt_depctr 0xfff
	v_fma_f32 v4, -v0, v3, 1.0
	v_fmac_f32_e32 v3, v4, v3
	v_div_scale_f32 v4, vcc_lo, v10, v11, v10
	s_delay_alu instid0(VALU_DEP_1) | instskip(NEXT) | instid1(VALU_DEP_1)
	v_mul_f32_e32 v5, v4, v3
	v_fma_f32 v6, -v0, v5, v4
	s_delay_alu instid0(VALU_DEP_1) | instskip(NEXT) | instid1(VALU_DEP_1)
	v_fmac_f32_e32 v5, v6, v3
	v_fma_f32 v0, -v0, v5, v4
	s_delay_alu instid0(VALU_DEP_1) | instskip(NEXT) | instid1(VALU_DEP_1)
	v_div_fmas_f32 v0, v0, v3, v5
	v_div_fixup_f32 v0, v0, v11, v10
	global_store_b32 v[1:2], v0, off
.LBB16_24:
	s_nop 0
	s_sendmsg sendmsg(MSG_DEALLOC_VGPRS)
	s_endpgm
	.section	.rodata,"a",@progbits
	.p2align	6, 0x0
	.amdhsa_kernel _ZL33flash_attn_stream_k_fixup_generalILi128ELi1ELi1EEvPfPK15HIP_vector_typeIfLj2EEiiiiS1_IjLj3EES5_S5_S5_
		.amdhsa_group_segment_fixed_size 0
		.amdhsa_private_segment_fixed_size 0
		.amdhsa_kernarg_size 336
		.amdhsa_user_sgpr_count 13
		.amdhsa_user_sgpr_dispatch_ptr 0
		.amdhsa_user_sgpr_queue_ptr 0
		.amdhsa_user_sgpr_kernarg_segment_ptr 1
		.amdhsa_user_sgpr_dispatch_id 0
		.amdhsa_user_sgpr_private_segment_size 0
		.amdhsa_wavefront_size32 1
		.amdhsa_uses_dynamic_stack 0
		.amdhsa_enable_private_segment 0
		.amdhsa_system_sgpr_workgroup_id_x 1
		.amdhsa_system_sgpr_workgroup_id_y 1
		.amdhsa_system_sgpr_workgroup_id_z 1
		.amdhsa_system_sgpr_workgroup_info 0
		.amdhsa_system_vgpr_workitem_id 0
		.amdhsa_next_free_vgpr 19
		.amdhsa_next_free_sgpr 32
		.amdhsa_reserve_vcc 1
		.amdhsa_float_round_mode_32 0
		.amdhsa_float_round_mode_16_64 0
		.amdhsa_float_denorm_mode_32 3
		.amdhsa_float_denorm_mode_16_64 3
		.amdhsa_dx10_clamp 1
		.amdhsa_ieee_mode 1
		.amdhsa_fp16_overflow 0
		.amdhsa_workgroup_processor_mode 1
		.amdhsa_memory_ordered 1
		.amdhsa_forward_progress 0
		.amdhsa_shared_vgpr_count 0
		.amdhsa_exception_fp_ieee_invalid_op 0
		.amdhsa_exception_fp_denorm_src 0
		.amdhsa_exception_fp_ieee_div_zero 0
		.amdhsa_exception_fp_ieee_overflow 0
		.amdhsa_exception_fp_ieee_underflow 0
		.amdhsa_exception_fp_ieee_inexact 0
		.amdhsa_exception_int_div_zero 0
	.end_amdhsa_kernel
	.section	.text._ZL33flash_attn_stream_k_fixup_generalILi128ELi1ELi1EEvPfPK15HIP_vector_typeIfLj2EEiiiiS1_IjLj3EES5_S5_S5_,"axG",@progbits,_ZL33flash_attn_stream_k_fixup_generalILi128ELi1ELi1EEvPfPK15HIP_vector_typeIfLj2EEiiiiS1_IjLj3EES5_S5_S5_,comdat
.Lfunc_end16:
	.size	_ZL33flash_attn_stream_k_fixup_generalILi128ELi1ELi1EEvPfPK15HIP_vector_typeIfLj2EEiiiiS1_IjLj3EES5_S5_S5_, .Lfunc_end16-_ZL33flash_attn_stream_k_fixup_generalILi128ELi1ELi1EEvPfPK15HIP_vector_typeIfLj2EEiiiiS1_IjLj3EES5_S5_S5_
                                        ; -- End function
	.section	.AMDGPU.csdata,"",@progbits
; Kernel info:
; codeLenInByte = 3168
; NumSgprs: 34
; NumVgprs: 19
; ScratchSize: 0
; MemoryBound: 0
; FloatMode: 240
; IeeeMode: 1
; LDSByteSize: 0 bytes/workgroup (compile time only)
; SGPRBlocks: 4
; VGPRBlocks: 2
; NumSGPRsForWavesPerEU: 34
; NumVGPRsForWavesPerEU: 19
; Occupancy: 16
; WaveLimiterHint : 0
; COMPUTE_PGM_RSRC2:SCRATCH_EN: 0
; COMPUTE_PGM_RSRC2:USER_SGPR: 13
; COMPUTE_PGM_RSRC2:TRAP_HANDLER: 0
; COMPUTE_PGM_RSRC2:TGID_X_EN: 1
; COMPUTE_PGM_RSRC2:TGID_Y_EN: 1
; COMPUTE_PGM_RSRC2:TGID_Z_EN: 1
; COMPUTE_PGM_RSRC2:TIDIG_COMP_CNT: 0
	.section	.text._ZL26flash_attn_combine_resultsILi128EEvPKfPK15HIP_vector_typeIfLj2EEPfi,"axG",@progbits,_ZL26flash_attn_combine_resultsILi128EEvPKfPK15HIP_vector_typeIfLj2EEPfi,comdat
	.globl	_ZL26flash_attn_combine_resultsILi128EEvPKfPK15HIP_vector_typeIfLj2EEPfi ; -- Begin function _ZL26flash_attn_combine_resultsILi128EEvPKfPK15HIP_vector_typeIfLj2EEPfi
	.p2align	8
	.type	_ZL26flash_attn_combine_resultsILi128EEvPKfPK15HIP_vector_typeIfLj2EEPfi,@function
_ZL26flash_attn_combine_resultsILi128EEvPKfPK15HIP_vector_typeIfLj2EEPfi: ; @_ZL26flash_attn_combine_resultsILi128EEvPKfPK15HIP_vector_typeIfLj2EEPfi
; %bb.0:
	s_clause 0x3
	s_load_b64 s[2:3], s[0:1], 0x20
	s_load_b32 s11, s[0:1], 0x18
	s_load_b128 s[4:7], s[0:1], 0x0
	s_load_b64 s[8:9], s[0:1], 0x10
	v_lshlrev_b32_e32 v5, 2, v0
	s_mov_b32 s12, exec_lo
	s_waitcnt lgkmcnt(0)
	s_mul_i32 s0, s2, s15
	s_lshl_b32 s1, s11, 1
	s_add_i32 s0, s0, s13
	s_delay_alu instid0(SALU_CYCLE_1) | instskip(NEXT) | instid1(SALU_CYCLE_1)
	s_mul_i32 s10, s0, s3
	s_add_i32 s10, s10, s14
	s_delay_alu instid0(SALU_CYCLE_1)
	s_mul_i32 s2, s10, s11
	v_cmpx_gt_i32_e64 s1, v0
	s_cbranch_execz .LBB17_3
; %bb.1:
	s_ashr_i32 s3, s2, 31
	v_dual_mov_b32 v4, v0 :: v_dual_add_nc_u32 v3, 0, v5
	s_lshl_b64 s[14:15], s[2:3], 3
	s_delay_alu instid0(SALU_CYCLE_1) | instskip(SKIP_2) | instid1(VALU_DEP_1)
	s_add_u32 s0, s6, s14
	s_addc_u32 s3, s7, s15
	v_add_co_u32 v1, s0, s0, v5
	v_add_co_ci_u32_e64 v2, null, s3, 0, s0
	s_mov_b32 s3, 0
	.p2align	6
.LBB17_2:                               ; =>This Inner Loop Header: Depth=1
	global_load_b32 v6, v[1:2], off
	v_add_nc_u32_e32 v4, 0x80, v4
	v_add_co_u32 v1, vcc_lo, 0x200, v1
	v_add_co_ci_u32_e32 v2, vcc_lo, 0, v2, vcc_lo
	s_delay_alu instid0(VALU_DEP_3) | instskip(NEXT) | instid1(VALU_DEP_1)
	v_cmp_le_i32_e64 s0, s1, v4
	s_or_b32 s3, s0, s3
	s_waitcnt vmcnt(0)
	ds_store_b32 v3, v6
	v_add_nc_u32_e32 v3, 0x200, v3
	s_and_not1_b32 exec_lo, exec_lo, s3
	s_cbranch_execnz .LBB17_2
.LBB17_3:
	s_or_b32 exec_lo, exec_lo, s12
	v_mov_b32_e32 v1, 0
	s_waitcnt lgkmcnt(0)
	s_barrier
	buffer_gl0_inv
	s_cmp_lt_i32 s11, 2
	ds_load_b32 v6, v1
	s_cbranch_scc1 .LBB17_11
; %bb.4:
	s_add_i32 s1, s11, -2
	s_add_i32 s0, s11, -1
	s_cmp_lt_u32 s1, 7
	s_cbranch_scc1 .LBB17_8
; %bb.5:
	s_mov_b32 s3, 0
	s_add_i32 s1, 0, 8
	s_and_b32 s6, s0, -8
	.p2align	6
.LBB17_6:                               ; =>This Inner Loop Header: Depth=1
	v_mov_b32_e32 v9, s1
	s_mov_b32 s7, s3
	s_add_i32 s3, s3, 8
	s_add_i32 s1, s1, 64
	s_cmp_eq_u32 s6, s3
	ds_load_2addr_b32 v[1:2], v9 offset1:2
	ds_load_2addr_b32 v[3:4], v9 offset0:4 offset1:6
	ds_load_2addr_b32 v[7:8], v9 offset0:8 offset1:10
	;; [unrolled: 1-line block ×3, first 2 shown]
	s_waitcnt lgkmcnt(3)
	v_max3_f32 v1, v6, v1, v2
	s_waitcnt lgkmcnt(2)
	s_delay_alu instid0(VALU_DEP_1) | instskip(SKIP_1) | instid1(VALU_DEP_1)
	v_max3_f32 v1, v1, v3, v4
	s_waitcnt lgkmcnt(1)
	v_max3_f32 v1, v1, v7, v8
	s_waitcnt lgkmcnt(0)
	s_delay_alu instid0(VALU_DEP_1)
	v_max3_f32 v6, v1, v9, v10
	s_cbranch_scc0 .LBB17_6
; %bb.7:
	s_add_i32 s1, s7, 9
	s_and_b32 s0, s0, 7
	s_delay_alu instid0(SALU_CYCLE_1)
	s_cmp_eq_u32 s0, 0
	s_cbranch_scc0 .LBB17_9
	s_branch .LBB17_11
.LBB17_8:
	s_mov_b32 s1, 1
	s_and_b32 s0, s0, 7
	s_delay_alu instid0(SALU_CYCLE_1)
	s_cmp_eq_u32 s0, 0
	s_cbranch_scc1 .LBB17_11
.LBB17_9:
	s_lshl_b32 s1, s1, 3
	s_delay_alu instid0(SALU_CYCLE_1)
	s_add_i32 s1, s1, 0
.LBB17_10:                              ; =>This Inner Loop Header: Depth=1
	s_waitcnt lgkmcnt(0)
	s_delay_alu instid0(VALU_DEP_1)
	v_dual_mov_b32 v1, s1 :: v_dual_max_f32 v2, v6, v6
	s_add_i32 s0, s0, -1
	s_add_i32 s1, s1, 8
	s_cmp_lg_u32 s0, 0
	ds_load_b32 v1, v1
	s_waitcnt lgkmcnt(0)
	v_max_f32_e32 v1, v1, v1
	s_delay_alu instid0(VALU_DEP_1)
	v_max_f32_e32 v6, v2, v1
	s_cbranch_scc1 .LBB17_10
.LBB17_11:
	s_cmp_lt_i32 s11, 1
	s_cbranch_scc1 .LBB17_16
; %bb.12:
	s_lshl_b32 s0, s2, 7
	v_mov_b32_e32 v7, 0
	s_ashr_i32 s1, s0, 31
	s_mov_b32 s13, 0
	s_lshl_b64 s[0:1], s[0:1], 2
	s_delay_alu instid0(SALU_CYCLE_1)
	s_add_u32 s6, s4, s0
	s_addc_u32 s7, s5, s1
	s_cmp_lt_u32 s11, 8
	s_cbranch_scc1 .LBB17_17
; %bb.13:
	v_or_b32_e32 v1, 0x380, v0
	v_dual_mov_b32 v4, 0 :: v_dual_mov_b32 v7, 0
	v_mov_b32_e32 v8, 0
	s_and_b32 s12, s11, 0x7ffffff8
	s_mov_b32 s14, 0
.LBB17_14:                              ; =>This Inner Loop Header: Depth=1
	s_delay_alu instid0(VALU_DEP_2) | instskip(SKIP_3) | instid1(VALU_DEP_2)
	v_dual_mov_b32 v2, v4 :: v_dual_add_nc_u32 v3, 0xfffffc80, v1
	v_mov_b32_e32 v21, s13
	s_add_i32 s14, s14, 8
	s_add_i32 s13, s13, 64
	v_lshlrev_b64 v[9:10], 2, v[3:4]
	v_add_nc_u32_e32 v3, 0xfffffd00, v1
	v_lshlrev_b64 v[11:12], 2, v[1:2]
	s_cmp_eq_u32 s12, s14
	s_delay_alu instid0(VALU_DEP_2) | instskip(NEXT) | instid1(VALU_DEP_4)
	v_lshlrev_b64 v[13:14], 2, v[3:4]
	v_add_co_u32 v9, vcc_lo, s6, v9
	v_add_co_ci_u32_e32 v10, vcc_lo, s7, v10, vcc_lo
	v_add_nc_u32_e32 v3, 0xfffffd80, v1
	s_delay_alu instid0(VALU_DEP_4)
	v_add_co_u32 v13, vcc_lo, s6, v13
	global_load_b32 v25, v[9:10], off
	v_add_co_ci_u32_e32 v14, vcc_lo, s7, v14, vcc_lo
	v_lshlrev_b64 v[15:16], 2, v[3:4]
	v_add_nc_u32_e32 v3, 0xfffffe00, v1
	global_load_b32 v26, v[13:14], off
	v_add_co_u32 v13, vcc_lo, s6, v15
	v_add_co_ci_u32_e32 v14, vcc_lo, s7, v16, vcc_lo
	v_lshlrev_b64 v[9:10], 2, v[3:4]
	v_add_nc_u32_e32 v3, 0xfffffe80, v1
	global_load_b32 v27, v[13:14], off
	v_add_co_u32 v9, vcc_lo, s6, v9
	v_lshlrev_b64 v[15:16], 2, v[3:4]
	v_add_nc_u32_e32 v3, 0xffffff00, v1
	v_add_co_ci_u32_e32 v10, vcc_lo, s7, v10, vcc_lo
	global_load_b32 v28, v[9:10], off
	v_lshlrev_b64 v[13:14], 2, v[3:4]
	v_add_nc_u32_e32 v3, 0xffffff80, v1
	v_add_co_u32 v9, vcc_lo, s6, v15
	v_add_co_ci_u32_e32 v10, vcc_lo, s7, v16, vcc_lo
	s_delay_alu instid0(VALU_DEP_4) | instskip(NEXT) | instid1(VALU_DEP_4)
	v_add_co_u32 v13, vcc_lo, s6, v13
	v_lshlrev_b64 v[2:3], 2, v[3:4]
	v_add_co_ci_u32_e32 v14, vcc_lo, s7, v14, vcc_lo
	s_clause 0x1
	global_load_b32 v29, v[9:10], off
	global_load_b32 v30, v[13:14], off
	v_add_co_u32 v2, vcc_lo, s6, v2
	v_add_co_ci_u32_e32 v3, vcc_lo, s7, v3, vcc_lo
	v_add_co_u32 v9, vcc_lo, s6, v11
	v_add_co_ci_u32_e32 v10, vcc_lo, s7, v12, vcc_lo
	s_clause 0x1
	global_load_b32 v2, v[2:3], off
	global_load_b32 v3, v[9:10], off
	ds_load_2addr_b64 v[9:12], v21 offset1:1
	ds_load_2addr_b64 v[13:16], v21 offset0:2 offset1:3
	ds_load_2addr_b64 v[17:20], v21 offset0:4 offset1:5
	;; [unrolled: 1-line block ×3, first 2 shown]
	v_add_nc_u32_e32 v1, 0x400, v1
	s_waitcnt lgkmcnt(1)
	v_sub_f32_e32 v19, v19, v6
	v_sub_f32_e32 v11, v11, v6
	s_waitcnt lgkmcnt(0)
	v_sub_f32_e32 v23, v23, v6
	s_delay_alu instid0(VALU_DEP_3) | instskip(NEXT) | instid1(VALU_DEP_3)
	v_dual_sub_f32 v13, v13, v6 :: v_dual_mul_f32 v36, 0x3fb8aa3b, v19
	v_mul_f32_e32 v32, 0x3fb8aa3b, v11
	s_delay_alu instid0(VALU_DEP_2) | instskip(SKIP_1) | instid1(VALU_DEP_4)
	v_dual_mul_f32 v38, 0x3fb8aa3b, v23 :: v_dual_mul_f32 v33, 0x3fb8aa3b, v13
	v_cmp_ngt_f32_e32 vcc_lo, 0xc2ce8ed0, v13
	v_fma_f32 v49, 0x3fb8aa3b, v19, -v36
	s_delay_alu instid0(VALU_DEP_4) | instskip(SKIP_4) | instid1(VALU_DEP_4)
	v_fma_f32 v41, 0x3fb8aa3b, v11, -v32
	v_rndne_f32_e32 v42, v32
	v_fma_f32 v43, 0x3fb8aa3b, v13, -v33
	v_rndne_f32_e32 v44, v33
	v_rndne_f32_e32 v50, v36
	v_dual_fmac_f32 v41, 0x32a5705f, v11 :: v_dual_sub_f32 v32, v32, v42
	v_sub_f32_e32 v15, v15, v6
	v_fmac_f32_e32 v43, 0x32a5705f, v13
	v_sub_f32_e32 v33, v33, v44
	v_cvt_i32_f32_e32 v42, v42
	v_dual_add_f32 v32, v32, v41 :: v_dual_sub_f32 v9, v9, v6
	v_mul_f32_e32 v34, 0x3fb8aa3b, v15
	s_delay_alu instid0(VALU_DEP_4) | instskip(SKIP_1) | instid1(VALU_DEP_4)
	v_add_f32_e32 v33, v33, v43
	v_cvt_i32_f32_e32 v44, v44
	v_exp_f32_e32 v32, v32
	v_mul_f32_e32 v31, 0x3fb8aa3b, v9
	v_fma_f32 v45, 0x3fb8aa3b, v15, -v34
	v_rndne_f32_e32 v46, v34
	v_exp_f32_e32 v33, v33
	v_cmp_ngt_f32_e64 s5, 0xc2ce8ed0, v9
	v_fma_f32 v39, 0x3fb8aa3b, v9, -v31
	v_rndne_f32_e32 v40, v31
	v_dual_fmac_f32 v45, 0x32a5705f, v15 :: v_dual_sub_f32 v34, v34, v46
	v_sub_f32_e32 v17, v17, v6
	s_delay_alu instid0(VALU_DEP_4) | instskip(NEXT) | instid1(VALU_DEP_4)
	v_fmac_f32_e32 v39, 0x32a5705f, v9
	v_sub_f32_e32 v31, v31, v40
	v_cvt_i32_f32_e32 v40, v40
	v_add_f32_e32 v34, v34, v45
	v_ldexp_f32 v32, v32, v42
	v_ldexp_f32 v33, v33, v44
	v_add_f32_e32 v31, v31, v39
	v_cvt_i32_f32_e32 v46, v46
	v_exp_f32_e32 v34, v34
	v_cmp_ngt_f32_e64 s0, 0xc2ce8ed0, v15
	v_fmac_f32_e32 v49, 0x32a5705f, v19
	v_exp_f32_e32 v31, v31
	v_sub_f32_e32 v36, v36, v50
	v_cvt_i32_f32_e32 v50, v50
	v_cmp_ngt_f32_e64 s1, 0xc2ce8ed0, v17
	v_rndne_f32_e32 v54, v38
	s_delay_alu instid0(VALU_DEP_4) | instskip(NEXT) | instid1(TRANS32_DEP_2)
	v_add_f32_e32 v36, v36, v49
	v_ldexp_f32 v34, v34, v46
	v_cmp_ngt_f32_e64 s2, 0xc2ce8ed0, v19
	s_delay_alu instid0(TRANS32_DEP_1) | instskip(NEXT) | instid1(VALU_DEP_4)
	v_ldexp_f32 v31, v31, v40
	v_exp_f32_e32 v36, v36
	s_delay_alu instid0(VALU_DEP_1) | instskip(SKIP_1) | instid1(VALU_DEP_1)
	v_cndmask_b32_e64 v31, 0, v31, s5
	v_cmp_ngt_f32_e64 s5, 0xc2ce8ed0, v11
	v_cndmask_b32_e64 v32, 0, v32, s5
	v_cmp_nlt_f32_e64 s5, 0x42b17218, v9
	s_waitcnt_depctr 0xfff
	v_ldexp_f32 v36, v36, v50
	v_cndmask_b32_e64 v9, 0x7f800000, v31, s5
	v_cndmask_b32_e32 v31, 0, v33, vcc_lo
	v_cmp_nlt_f32_e32 vcc_lo, 0x42b17218, v11
	s_delay_alu instid0(VALU_DEP_3) | instskip(SKIP_1) | instid1(VALU_DEP_2)
	v_dual_fmac_f32 v8, v9, v10 :: v_dual_cndmask_b32 v11, 0x7f800000, v32
	v_cmp_nlt_f32_e32 vcc_lo, 0x42b17218, v13
	v_fmac_f32_e32 v8, v11, v12
	v_cndmask_b32_e32 v10, 0x7f800000, v31, vcc_lo
	v_cmp_nlt_f32_e32 vcc_lo, 0x42b17218, v15
	v_fma_f32 v53, 0x3fb8aa3b, v23, -v38
	v_sub_f32_e32 v38, v38, v54
	v_cvt_i32_f32_e32 v54, v54
	v_fmac_f32_e32 v8, v10, v14
	v_cmp_ngt_f32_e64 s4, 0xc2ce8ed0, v23
	v_fmac_f32_e32 v53, 0x32a5705f, v23
	s_delay_alu instid0(VALU_DEP_1) | instskip(NEXT) | instid1(VALU_DEP_1)
	v_dual_sub_f32 v21, v21, v6 :: v_dual_add_f32 v38, v38, v53
	v_cmp_ngt_f32_e64 s3, 0xc2ce8ed0, v21
	s_delay_alu instid0(VALU_DEP_2)
	v_exp_f32_e32 v38, v38
	s_waitcnt_depctr 0xfff
	v_ldexp_f32 v38, v38, v54
	s_waitcnt vmcnt(7)
	v_fmac_f32_e32 v7, v25, v9
	v_cndmask_b32_e64 v9, 0, v34, s0
	s_delay_alu instid0(VALU_DEP_1) | instskip(SKIP_1) | instid1(VALU_DEP_3)
	v_cndmask_b32_e32 v9, 0x7f800000, v9, vcc_lo
	s_waitcnt vmcnt(6)
	v_fmac_f32_e32 v7, v26, v11
	v_cmp_nlt_f32_e32 vcc_lo, 0x42b17218, v17
	s_delay_alu instid0(VALU_DEP_3) | instskip(SKIP_1) | instid1(VALU_DEP_3)
	v_dual_fmac_f32 v8, v9, v16 :: v_dual_mul_f32 v35, 0x3fb8aa3b, v17
	s_waitcnt vmcnt(5)
	v_fmac_f32_e32 v7, v27, v10
	s_delay_alu instid0(VALU_DEP_2) | instskip(SKIP_2) | instid1(VALU_DEP_3)
	v_fma_f32 v47, 0x3fb8aa3b, v17, -v35
	v_rndne_f32_e32 v48, v35
	v_cndmask_b32_e64 v10, 0, v36, s2
	v_fmac_f32_e32 v47, 0x32a5705f, v17
	s_delay_alu instid0(VALU_DEP_3) | instskip(SKIP_1) | instid1(VALU_DEP_2)
	v_sub_f32_e32 v35, v35, v48
	v_cvt_i32_f32_e32 v48, v48
	v_add_f32_e32 v35, v35, v47
	s_waitcnt vmcnt(4)
	v_fmac_f32_e32 v7, v28, v9
	s_delay_alu instid0(VALU_DEP_2) | instskip(SKIP_2) | instid1(VALU_DEP_1)
	v_exp_f32_e32 v35, v35
	s_waitcnt_depctr 0xfff
	v_ldexp_f32 v35, v35, v48
	v_cndmask_b32_e64 v11, 0, v35, s1
	s_delay_alu instid0(VALU_DEP_1) | instskip(SKIP_1) | instid1(VALU_DEP_2)
	v_cndmask_b32_e32 v11, 0x7f800000, v11, vcc_lo
	v_cmp_nlt_f32_e32 vcc_lo, 0x42b17218, v19
	v_fmac_f32_e32 v8, v11, v18
	v_cndmask_b32_e32 v10, 0x7f800000, v10, vcc_lo
	v_mul_f32_e32 v37, 0x3fb8aa3b, v21
	s_waitcnt vmcnt(3)
	v_fmac_f32_e32 v7, v29, v11
	v_cmp_nlt_f32_e32 vcc_lo, 0x42b17218, v21
	v_cndmask_b32_e64 v11, 0, v38, s4
	v_fmac_f32_e32 v8, v10, v20
	v_fma_f32 v51, 0x3fb8aa3b, v21, -v37
	v_rndne_f32_e32 v52, v37
	s_waitcnt vmcnt(2)
	v_fmac_f32_e32 v7, v30, v10
	s_delay_alu instid0(VALU_DEP_3) | instskip(NEXT) | instid1(VALU_DEP_3)
	v_fmac_f32_e32 v51, 0x32a5705f, v21
	v_sub_f32_e32 v37, v37, v52
	v_cvt_i32_f32_e32 v52, v52
	s_delay_alu instid0(VALU_DEP_2) | instskip(NEXT) | instid1(VALU_DEP_1)
	v_add_f32_e32 v37, v37, v51
	v_exp_f32_e32 v37, v37
	s_waitcnt_depctr 0xfff
	v_ldexp_f32 v37, v37, v52
	s_delay_alu instid0(VALU_DEP_1) | instskip(NEXT) | instid1(VALU_DEP_1)
	v_cndmask_b32_e64 v9, 0, v37, s3
	v_cndmask_b32_e32 v9, 0x7f800000, v9, vcc_lo
	v_cmp_nlt_f32_e32 vcc_lo, 0x42b17218, v23
	s_delay_alu instid0(VALU_DEP_2) | instskip(SKIP_3) | instid1(VALU_DEP_1)
	v_fmac_f32_e32 v8, v9, v22
	s_waitcnt vmcnt(1)
	v_dual_cndmask_b32 v10, 0x7f800000, v11 :: v_dual_fmac_f32 v7, v2, v9
	s_waitcnt vmcnt(0)
	v_dual_fmac_f32 v8, v10, v24 :: v_dual_fmac_f32 v7, v3, v10
	s_cbranch_scc0 .LBB17_14
; %bb.15:
	s_and_b32 s0, s11, 7
	s_delay_alu instid0(SALU_CYCLE_1)
	s_cmp_eq_u32 s0, 0
	s_cbranch_scc0 .LBB17_18
	s_branch .LBB17_20
.LBB17_16:
	v_mov_b32_e32 v0, 0x7fc00000
	s_branch .LBB17_21
.LBB17_17:
	v_mov_b32_e32 v8, 0
	s_mov_b32 s12, 0
	s_and_b32 s0, s11, 7
	s_delay_alu instid0(SALU_CYCLE_1)
	s_cmp_eq_u32 s0, 0
	s_cbranch_scc1 .LBB17_20
.LBB17_18:
	v_lshl_or_b32 v0, s12, 7, v0
	v_mov_b32_e32 v1, 0
	s_lshl_b32 s1, s12, 3
	s_delay_alu instid0(SALU_CYCLE_1)
	s_add_i32 s1, s1, 0
	s_set_inst_prefetch_distance 0x1
	.p2align	6
.LBB17_19:                              ; =>This Inner Loop Header: Depth=1
	s_delay_alu instid0(VALU_DEP_1) | instskip(SKIP_2) | instid1(VALU_DEP_2)
	v_lshlrev_b64 v[2:3], 2, v[0:1]
	s_add_i32 s0, s0, -1
	v_add_nc_u32_e32 v0, 0x80, v0
	v_add_co_u32 v2, vcc_lo, s6, v2
	s_delay_alu instid0(VALU_DEP_3)
	v_add_co_ci_u32_e32 v3, vcc_lo, s7, v3, vcc_lo
	global_load_b32 v4, v[2:3], off
	v_mov_b32_e32 v2, s1
	s_add_i32 s1, s1, 8
	s_cmp_lg_u32 s0, 0
	ds_load_b64 v[2:3], v2
	s_waitcnt lgkmcnt(0)
	v_sub_f32_e32 v2, v2, v6
	s_delay_alu instid0(VALU_DEP_1) | instskip(SKIP_1) | instid1(VALU_DEP_2)
	v_mul_f32_e32 v9, 0x3fb8aa3b, v2
	v_cmp_ngt_f32_e32 vcc_lo, 0xc2ce8ed0, v2
	v_fma_f32 v10, 0x3fb8aa3b, v2, -v9
	v_rndne_f32_e32 v11, v9
	s_delay_alu instid0(VALU_DEP_1) | instskip(NEXT) | instid1(VALU_DEP_1)
	v_dual_fmac_f32 v10, 0x32a5705f, v2 :: v_dual_sub_f32 v9, v9, v11
	v_add_f32_e32 v9, v9, v10
	v_cvt_i32_f32_e32 v10, v11
	s_delay_alu instid0(VALU_DEP_2) | instskip(SKIP_2) | instid1(VALU_DEP_1)
	v_exp_f32_e32 v9, v9
	s_waitcnt_depctr 0xfff
	v_ldexp_f32 v9, v9, v10
	v_cndmask_b32_e32 v9, 0, v9, vcc_lo
	v_cmp_nlt_f32_e32 vcc_lo, 0x42b17218, v2
	s_delay_alu instid0(VALU_DEP_2) | instskip(SKIP_1) | instid1(VALU_DEP_1)
	v_cndmask_b32_e32 v2, 0x7f800000, v9, vcc_lo
	s_waitcnt vmcnt(0)
	v_dual_fmac_f32 v8, v2, v3 :: v_dual_fmac_f32 v7, v4, v2
	s_cbranch_scc1 .LBB17_19
.LBB17_20:
	s_set_inst_prefetch_distance 0x2
	s_delay_alu instid0(VALU_DEP_1) | instskip(NEXT) | instid1(VALU_DEP_1)
	v_div_scale_f32 v0, null, v8, v8, v7
	v_rcp_f32_e32 v1, v0
	s_waitcnt_depctr 0xfff
	v_fma_f32 v2, -v0, v1, 1.0
	s_delay_alu instid0(VALU_DEP_1) | instskip(SKIP_1) | instid1(VALU_DEP_1)
	v_fmac_f32_e32 v1, v2, v1
	v_div_scale_f32 v2, vcc_lo, v7, v8, v7
	v_mul_f32_e32 v3, v2, v1
	s_delay_alu instid0(VALU_DEP_1) | instskip(NEXT) | instid1(VALU_DEP_1)
	v_fma_f32 v4, -v0, v3, v2
	v_fmac_f32_e32 v3, v4, v1
	s_delay_alu instid0(VALU_DEP_1) | instskip(NEXT) | instid1(VALU_DEP_1)
	v_fma_f32 v0, -v0, v3, v2
	v_div_fmas_f32 v0, v0, v1, v3
	s_delay_alu instid0(VALU_DEP_1)
	v_div_fixup_f32 v0, v0, v8, v7
.LBB17_21:
	s_lshl_b32 s0, s10, 7
	s_delay_alu instid0(SALU_CYCLE_1) | instskip(NEXT) | instid1(SALU_CYCLE_1)
	s_ashr_i32 s1, s0, 31
	s_lshl_b64 s[0:1], s[0:1], 2
	s_delay_alu instid0(SALU_CYCLE_1)
	s_add_u32 s0, s8, s0
	s_addc_u32 s1, s9, s1
	global_store_b32 v5, v0, s[0:1]
	s_nop 0
	s_sendmsg sendmsg(MSG_DEALLOC_VGPRS)
	s_endpgm
	.section	.rodata,"a",@progbits
	.p2align	6, 0x0
	.amdhsa_kernel _ZL26flash_attn_combine_resultsILi128EEvPKfPK15HIP_vector_typeIfLj2EEPfi
		.amdhsa_group_segment_fixed_size 0
		.amdhsa_private_segment_fixed_size 0
		.amdhsa_kernarg_size 288
		.amdhsa_user_sgpr_count 13
		.amdhsa_user_sgpr_dispatch_ptr 0
		.amdhsa_user_sgpr_queue_ptr 0
		.amdhsa_user_sgpr_kernarg_segment_ptr 1
		.amdhsa_user_sgpr_dispatch_id 0
		.amdhsa_user_sgpr_private_segment_size 0
		.amdhsa_wavefront_size32 1
		.amdhsa_uses_dynamic_stack 0
		.amdhsa_enable_private_segment 0
		.amdhsa_system_sgpr_workgroup_id_x 1
		.amdhsa_system_sgpr_workgroup_id_y 1
		.amdhsa_system_sgpr_workgroup_id_z 1
		.amdhsa_system_sgpr_workgroup_info 0
		.amdhsa_system_vgpr_workitem_id 0
		.amdhsa_next_free_vgpr 55
		.amdhsa_next_free_sgpr 16
		.amdhsa_reserve_vcc 1
		.amdhsa_float_round_mode_32 0
		.amdhsa_float_round_mode_16_64 0
		.amdhsa_float_denorm_mode_32 3
		.amdhsa_float_denorm_mode_16_64 3
		.amdhsa_dx10_clamp 1
		.amdhsa_ieee_mode 1
		.amdhsa_fp16_overflow 0
		.amdhsa_workgroup_processor_mode 1
		.amdhsa_memory_ordered 1
		.amdhsa_forward_progress 0
		.amdhsa_shared_vgpr_count 0
		.amdhsa_exception_fp_ieee_invalid_op 0
		.amdhsa_exception_fp_denorm_src 0
		.amdhsa_exception_fp_ieee_div_zero 0
		.amdhsa_exception_fp_ieee_overflow 0
		.amdhsa_exception_fp_ieee_underflow 0
		.amdhsa_exception_fp_ieee_inexact 0
		.amdhsa_exception_int_div_zero 0
	.end_amdhsa_kernel
	.section	.text._ZL26flash_attn_combine_resultsILi128EEvPKfPK15HIP_vector_typeIfLj2EEPfi,"axG",@progbits,_ZL26flash_attn_combine_resultsILi128EEvPKfPK15HIP_vector_typeIfLj2EEPfi,comdat
.Lfunc_end17:
	.size	_ZL26flash_attn_combine_resultsILi128EEvPKfPK15HIP_vector_typeIfLj2EEPfi, .Lfunc_end17-_ZL26flash_attn_combine_resultsILi128EEvPKfPK15HIP_vector_typeIfLj2EEPfi
                                        ; -- End function
	.section	.AMDGPU.csdata,"",@progbits
; Kernel info:
; codeLenInByte = 2352
; NumSgprs: 18
; NumVgprs: 55
; ScratchSize: 0
; MemoryBound: 0
; FloatMode: 240
; IeeeMode: 1
; LDSByteSize: 0 bytes/workgroup (compile time only)
; SGPRBlocks: 2
; VGPRBlocks: 6
; NumSGPRsForWavesPerEU: 18
; NumVGPRsForWavesPerEU: 55
; Occupancy: 16
; WaveLimiterHint : 0
; COMPUTE_PGM_RSRC2:SCRATCH_EN: 0
; COMPUTE_PGM_RSRC2:USER_SGPR: 13
; COMPUTE_PGM_RSRC2:TRAP_HANDLER: 0
; COMPUTE_PGM_RSRC2:TGID_X_EN: 1
; COMPUTE_PGM_RSRC2:TGID_Y_EN: 1
; COMPUTE_PGM_RSRC2:TGID_Z_EN: 1
; COMPUTE_PGM_RSRC2:TIDIG_COMP_CNT: 0
	.section	.text._ZL18flash_attn_ext_vecILi128ELi1EL9ggml_type30ELS0_1ELb1EEvPKcS2_S2_S2_S2_PKiPfP15HIP_vector_typeIfLj2EEffffjfiS6_IjLj3EEiiiiiiiiiiiliiliiiiil,"axG",@progbits,_ZL18flash_attn_ext_vecILi128ELi1EL9ggml_type30ELS0_1ELb1EEvPKcS2_S2_S2_S2_PKiPfP15HIP_vector_typeIfLj2EEffffjfiS6_IjLj3EEiiiiiiiiiiiliiliiiiil,comdat
	.globl	_ZL18flash_attn_ext_vecILi128ELi1EL9ggml_type30ELS0_1ELb1EEvPKcS2_S2_S2_S2_PKiPfP15HIP_vector_typeIfLj2EEffffjfiS6_IjLj3EEiiiiiiiiiiiliiliiiiil ; -- Begin function _ZL18flash_attn_ext_vecILi128ELi1EL9ggml_type30ELS0_1ELb1EEvPKcS2_S2_S2_S2_PKiPfP15HIP_vector_typeIfLj2EEffffjfiS6_IjLj3EEiiiiiiiiiiiliiliiiiil
	.p2align	8
	.type	_ZL18flash_attn_ext_vecILi128ELi1EL9ggml_type30ELS0_1ELb1EEvPKcS2_S2_S2_S2_PKiPfP15HIP_vector_typeIfLj2EEffffjfiS6_IjLj3EEiiiiiiiiiiiliiliiiiil,@function
_ZL18flash_attn_ext_vecILi128ELi1EL9ggml_type30ELS0_1ELb1EEvPKcS2_S2_S2_S2_PKiPfP15HIP_vector_typeIfLj2EEffffjfiS6_IjLj3EEiiiiiiiiiiiliiliiiiil: ; @_ZL18flash_attn_ext_vecILi128ELi1EL9ggml_type30ELS0_1ELb1EEvPKcS2_S2_S2_S2_PKiPfP15HIP_vector_typeIfLj2EEffffjfiS6_IjLj3EEiiiiiiiiiiiliiliiiiil
; %bb.0:
	s_clause 0x4
	s_load_b64 s[34:35], s[0:1], 0x64
	s_load_b64 s[42:43], s[0:1], 0x80
	;; [unrolled: 1-line block ×3, first 2 shown]
	s_load_b128 s[36:39], s[0:1], 0x40
	s_load_b64 s[44:45], s[0:1], 0x50
	v_mov_b32_e32 v24, 1.0
	s_waitcnt lgkmcnt(0)
	v_cvt_f32_u32_e32 v1, s35
	s_sub_i32 s3, 0, s35
	s_delay_alu instid0(VALU_DEP_1) | instskip(SKIP_2) | instid1(VALU_DEP_1)
	v_rcp_iflag_f32_e32 v1, v1
	s_waitcnt_depctr 0xfff
	v_mul_f32_e32 v1, 0x4f7ffffe, v1
	v_cvt_u32_f32_e32 v1, v1
	s_delay_alu instid0(VALU_DEP_1) | instskip(NEXT) | instid1(VALU_DEP_1)
	v_readfirstlane_b32 s2, v1
	s_mul_i32 s3, s3, s2
	s_delay_alu instid0(SALU_CYCLE_1) | instskip(NEXT) | instid1(SALU_CYCLE_1)
	s_mul_hi_u32 s3, s2, s3
	s_add_i32 s2, s2, s3
	s_delay_alu instid0(SALU_CYCLE_1) | instskip(NEXT) | instid1(SALU_CYCLE_1)
	s_mul_hi_u32 s2, s15, s2
	s_mul_i32 s3, s2, s35
	s_add_i32 s6, s2, 1
	s_sub_i32 s3, s15, s3
	s_delay_alu instid0(SALU_CYCLE_1)
	s_sub_i32 s7, s3, s35
	s_cmp_ge_u32 s3, s35
	s_cselect_b32 s2, s6, s2
	s_cselect_b32 s3, s7, s3
	s_add_i32 s6, s2, 1
	s_cmp_ge_u32 s3, s35
	s_cselect_b32 s12, s6, s2
	s_abs_i32 s2, s43
	s_abs_i32 s8, s35
	v_cvt_f32_u32_e32 v1, s2
	s_sub_i32 s6, 0, s2
	s_xor_b32 s7, s35, s43
	s_delay_alu instid0(SALU_CYCLE_1) | instskip(NEXT) | instid1(VALU_DEP_1)
	s_ashr_i32 s7, s7, 31
	v_rcp_iflag_f32_e32 v1, v1
	s_waitcnt_depctr 0xfff
	v_mul_f32_e32 v1, 0x4f7ffffe, v1
	s_delay_alu instid0(VALU_DEP_1) | instskip(NEXT) | instid1(VALU_DEP_1)
	v_cvt_u32_f32_e32 v1, v1
	v_readfirstlane_b32 s3, v1
	s_delay_alu instid0(VALU_DEP_1) | instskip(NEXT) | instid1(SALU_CYCLE_1)
	s_mul_i32 s6, s6, s3
	s_mul_hi_u32 s6, s3, s6
	s_delay_alu instid0(SALU_CYCLE_1) | instskip(SKIP_4) | instid1(SALU_CYCLE_1)
	s_add_i32 s3, s3, s6
	s_mul_i32 s6, s12, s35
	s_mul_hi_u32 s3, s8, s3
	s_sub_i32 s40, s15, s6
	s_mul_i32 s9, s3, s2
	s_sub_i32 s6, s8, s9
	s_add_i32 s8, s3, 1
	s_sub_i32 s9, s6, s2
	s_cmp_ge_u32 s6, s2
	s_cselect_b32 s3, s8, s3
	s_cselect_b32 s6, s9, s6
	s_add_i32 s8, s3, 1
	s_cmp_ge_u32 s6, s2
	s_cselect_b32 s2, s8, s3
	s_abs_i32 s15, s4
	s_xor_b32 s2, s2, s7
	v_cvt_f32_u32_e32 v1, s15
	s_sub_i32 s7, s2, s7
	v_cmp_le_f32_e64 s2, s37, 0
	s_abs_i32 s6, s7
	s_delay_alu instid0(SALU_CYCLE_1) | instskip(SKIP_1) | instid1(VALU_DEP_2)
	v_cvt_f32_u32_e32 v2, s6
	v_rcp_iflag_f32_e32 v1, v1
	s_and_b32 vcc_lo, exec_lo, s2
	s_delay_alu instid0(VALU_DEP_1) | instskip(SKIP_2) | instid1(VALU_DEP_1)
	v_rcp_iflag_f32_e32 v2, v2
	s_waitcnt_depctr 0xfff
	v_dual_mul_f32 v1, 0x4f7ffffe, v1 :: v_dual_mul_f32 v2, 0x4f7ffffe, v2
	v_cvt_u32_f32_e32 v1, v1
	s_delay_alu instid0(VALU_DEP_2) | instskip(NEXT) | instid1(VALU_DEP_2)
	v_cvt_u32_f32_e32 v2, v2
	v_readfirstlane_b32 s8, v1
	s_delay_alu instid0(VALU_DEP_2)
	v_readfirstlane_b32 s9, v2
	s_cbranch_vccnz .LBB18_2
; %bb.1:
	s_sub_i32 s2, s40, s44
	s_add_i32 s3, s40, 1
	s_lshl_b32 s2, s2, 1
	v_mov_b32_e32 v1, s38
	s_or_b32 s2, s2, 1
	s_cmp_lt_u32 s40, s44
	s_cselect_b32 vcc_lo, -1, 0
	s_delay_alu instid0(VALU_DEP_1)
	v_cndmask_b32_e32 v3, s39, v1, vcc_lo
	s_and_b32 s4, vcc_lo, exec_lo
	s_cselect_b32 s2, s3, s2
	s_mov_b32 s3, 0x3e76c4e1
	v_cvt_f32_i32_e32 v1, s2
	v_cmp_neq_f32_e32 vcc_lo, 1.0, v3
	s_delay_alu instid0(VALU_DEP_2) | instskip(NEXT) | instid1(VALU_DEP_1)
	v_cndmask_b32_e32 v4, 1.0, v1, vcc_lo
	v_cmp_eq_f32_e32 vcc_lo, 0, v4
	v_cndmask_b32_e64 v5, |v3|, 1.0, vcc_lo
	s_delay_alu instid0(VALU_DEP_1) | instskip(NEXT) | instid1(VALU_DEP_1)
	v_frexp_mant_f32_e32 v1, v5
	v_cmp_gt_f32_e64 s2, 0x3f2aaaab, v1
	s_delay_alu instid0(VALU_DEP_1) | instskip(NEXT) | instid1(VALU_DEP_1)
	v_cndmask_b32_e64 v2, 1.0, 2.0, s2
	v_mul_f32_e32 v1, v1, v2
	s_delay_alu instid0(VALU_DEP_1) | instskip(SKIP_1) | instid1(VALU_DEP_2)
	v_add_f32_e32 v2, 1.0, v1
	v_add_f32_e32 v7, -1.0, v1
	v_rcp_f32_e32 v6, v2
	s_waitcnt_depctr 0xfff
	v_mul_f32_e32 v8, v7, v6
	s_delay_alu instid0(VALU_DEP_1) | instskip(NEXT) | instid1(VALU_DEP_1)
	v_dual_add_f32 v9, -1.0, v2 :: v_dual_mul_f32 v10, v2, v8
	v_sub_f32_e32 v1, v1, v9
	v_cndmask_b32_e64 v3, v3, 1.0, vcc_lo
	s_delay_alu instid0(VALU_DEP_3) | instskip(NEXT) | instid1(VALU_DEP_2)
	v_fma_f32 v2, v8, v2, -v10
	v_cmp_eq_f32_e64 s4, 0, v3
	s_delay_alu instid0(VALU_DEP_2) | instskip(NEXT) | instid1(VALU_DEP_1)
	v_fmac_f32_e32 v2, v8, v1
	v_add_f32_e32 v1, v10, v2
	s_delay_alu instid0(VALU_DEP_1) | instskip(NEXT) | instid1(VALU_DEP_1)
	v_dual_sub_f32 v10, v1, v10 :: v_dual_sub_f32 v9, v7, v1
	v_dual_sub_f32 v2, v10, v2 :: v_dual_sub_f32 v7, v7, v9
	s_delay_alu instid0(VALU_DEP_1) | instskip(NEXT) | instid1(VALU_DEP_1)
	v_sub_f32_e32 v1, v7, v1
	v_add_f32_e32 v1, v2, v1
	s_delay_alu instid0(VALU_DEP_1) | instskip(NEXT) | instid1(VALU_DEP_1)
	v_add_f32_e32 v1, v9, v1
	v_mul_f32_e32 v1, v6, v1
	s_delay_alu instid0(VALU_DEP_1) | instskip(NEXT) | instid1(VALU_DEP_1)
	v_add_f32_e32 v6, v8, v1
	v_sub_f32_e32 v2, v6, v8
	v_mul_f32_e32 v7, v6, v6
	s_delay_alu instid0(VALU_DEP_2) | instskip(NEXT) | instid1(VALU_DEP_2)
	v_sub_f32_e32 v8, v1, v2
	v_fma_f32 v9, v6, v6, -v7
	s_delay_alu instid0(VALU_DEP_2) | instskip(NEXT) | instid1(VALU_DEP_1)
	v_add_f32_e32 v1, v8, v8
	v_fmac_f32_e32 v9, v6, v1
	v_cvt_f64_f32_e32 v[1:2], v5
	s_delay_alu instid0(VALU_DEP_2) | instskip(NEXT) | instid1(VALU_DEP_1)
	v_add_f32_e32 v10, v7, v9
	v_fmaak_f32 v11, s3, v10, 0x3e91f4c4
	v_sub_f32_e32 v7, v10, v7
	v_mul_f32_e32 v14, v6, v10
	s_delay_alu instid0(VALU_DEP_3) | instskip(NEXT) | instid1(VALU_DEP_3)
	v_fmaak_f32 v11, v10, v11, 0x3ecccdef
	v_sub_f32_e32 v7, v9, v7
	s_delay_alu instid0(VALU_DEP_2) | instskip(NEXT) | instid1(VALU_DEP_1)
	v_mul_f32_e32 v12, v10, v11
	v_fma_f32 v9, v10, v11, -v12
	s_delay_alu instid0(VALU_DEP_1) | instskip(NEXT) | instid1(VALU_DEP_1)
	v_fmac_f32_e32 v9, v7, v11
	v_add_f32_e32 v11, v12, v9
	v_frexp_exp_i32_f64_e32 v1, v[1:2]
	s_delay_alu instid0(VALU_DEP_2) | instskip(NEXT) | instid1(VALU_DEP_1)
	v_sub_f32_e32 v12, v11, v12
	v_sub_f32_e32 v2, v9, v12
	v_fma_f32 v12, v10, v6, -v14
	s_delay_alu instid0(VALU_DEP_2) | instskip(NEXT) | instid1(VALU_DEP_2)
	v_add_f32_e32 v2, 0x31739010, v2
	v_dual_add_f32 v13, 0x3f2aaaaa, v11 :: v_dual_fmac_f32 v12, v10, v8
	v_ldexp_f32 v8, v8, 1
	s_delay_alu instid0(VALU_DEP_2) | instskip(NEXT) | instid1(VALU_DEP_1)
	v_dual_add_f32 v9, 0xbf2aaaaa, v13 :: v_dual_fmac_f32 v12, v7, v6
	v_sub_f32_e32 v9, v11, v9
	s_delay_alu instid0(VALU_DEP_1) | instskip(NEXT) | instid1(VALU_DEP_3)
	v_add_f32_e32 v2, v2, v9
	v_add_f32_e32 v9, v14, v12
	s_delay_alu instid0(VALU_DEP_2) | instskip(NEXT) | instid1(VALU_DEP_1)
	v_add_f32_e32 v7, v13, v2
	v_sub_f32_e32 v10, v13, v7
	s_delay_alu instid0(VALU_DEP_3) | instskip(SKIP_2) | instid1(VALU_DEP_4)
	v_mul_f32_e32 v11, v9, v7
	v_sub_f32_e32 v13, v9, v14
	v_subrev_co_ci_u32_e64 v1, s2, 0, v1, s2
	v_add_f32_e32 v2, v2, v10
	s_delay_alu instid0(VALU_DEP_4) | instskip(NEXT) | instid1(VALU_DEP_4)
	v_fma_f32 v10, v9, v7, -v11
	v_sub_f32_e32 v12, v12, v13
	s_delay_alu instid0(VALU_DEP_4) | instskip(NEXT) | instid1(VALU_DEP_3)
	v_cvt_f32_i32_e32 v1, v1
	v_fmac_f32_e32 v10, v9, v2
	v_ldexp_f32 v2, v6, 1
	s_delay_alu instid0(VALU_DEP_2) | instskip(NEXT) | instid1(VALU_DEP_1)
	v_fmac_f32_e32 v10, v12, v7
	v_add_f32_e32 v6, v11, v10
	s_delay_alu instid0(VALU_DEP_1) | instskip(NEXT) | instid1(VALU_DEP_1)
	v_add_f32_e32 v7, v2, v6
	v_dual_sub_f32 v2, v7, v2 :: v_dual_sub_f32 v9, v6, v11
	s_delay_alu instid0(VALU_DEP_1) | instskip(NEXT) | instid1(VALU_DEP_2)
	v_sub_f32_e32 v2, v6, v2
	v_sub_f32_e32 v9, v10, v9
	s_delay_alu instid0(VALU_DEP_1) | instskip(NEXT) | instid1(VALU_DEP_1)
	v_add_f32_e32 v6, v8, v9
	v_dual_mul_f32 v11, 0x3f317218, v1 :: v_dual_add_f32 v2, v6, v2
	s_delay_alu instid0(VALU_DEP_1) | instskip(NEXT) | instid1(VALU_DEP_2)
	v_fma_f32 v10, 0x3f317218, v1, -v11
	v_add_f32_e32 v8, v7, v2
	s_delay_alu instid0(VALU_DEP_1) | instskip(NEXT) | instid1(VALU_DEP_1)
	v_sub_f32_e32 v7, v8, v7
	v_dual_fmamk_f32 v1, v1, 0xb102e308, v10 :: v_dual_sub_f32 v2, v2, v7
	s_delay_alu instid0(VALU_DEP_1) | instskip(NEXT) | instid1(VALU_DEP_1)
	v_add_f32_e32 v6, v11, v1
	v_add_f32_e32 v9, v6, v8
	s_delay_alu instid0(VALU_DEP_1) | instskip(NEXT) | instid1(VALU_DEP_1)
	v_dual_sub_f32 v11, v6, v11 :: v_dual_sub_f32 v10, v9, v6
	v_sub_f32_e32 v12, v9, v10
	s_delay_alu instid0(VALU_DEP_2) | instskip(NEXT) | instid1(VALU_DEP_2)
	v_sub_f32_e32 v1, v1, v11
	v_dual_sub_f32 v7, v8, v10 :: v_dual_sub_f32 v6, v6, v12
	s_delay_alu instid0(VALU_DEP_2) | instskip(NEXT) | instid1(VALU_DEP_2)
	v_add_f32_e32 v8, v1, v2
	v_add_f32_e32 v6, v7, v6
	s_delay_alu instid0(VALU_DEP_1) | instskip(NEXT) | instid1(VALU_DEP_1)
	v_add_f32_e32 v6, v8, v6
	v_dual_sub_f32 v7, v8, v1 :: v_dual_add_f32 v10, v9, v6
	s_delay_alu instid0(VALU_DEP_1) | instskip(SKIP_1) | instid1(VALU_DEP_3)
	v_sub_f32_e32 v8, v8, v7
	v_sub_f32_e32 v2, v2, v7
	;; [unrolled: 1-line block ×3, first 2 shown]
	s_delay_alu instid0(VALU_DEP_3) | instskip(NEXT) | instid1(VALU_DEP_1)
	v_sub_f32_e32 v1, v1, v8
	v_add_f32_e32 v1, v2, v1
	s_delay_alu instid0(VALU_DEP_3) | instskip(NEXT) | instid1(VALU_DEP_1)
	v_sub_f32_e32 v2, v6, v7
	v_add_f32_e32 v1, v1, v2
	s_delay_alu instid0(VALU_DEP_1) | instskip(NEXT) | instid1(VALU_DEP_1)
	v_add_f32_e32 v2, v10, v1
	v_mul_f32_e32 v7, v4, v2
	v_sub_f32_e32 v6, v2, v10
	s_delay_alu instid0(VALU_DEP_2) | instskip(NEXT) | instid1(VALU_DEP_2)
	v_fma_f32 v2, v4, v2, -v7
	v_sub_f32_e32 v1, v1, v6
	v_cmp_class_f32_e64 s2, v7, 0x204
	s_delay_alu instid0(VALU_DEP_2) | instskip(NEXT) | instid1(VALU_DEP_1)
	v_fmac_f32_e32 v2, v4, v1
	v_add_f32_e32 v1, v7, v2
	s_delay_alu instid0(VALU_DEP_1) | instskip(NEXT) | instid1(VALU_DEP_1)
	v_cndmask_b32_e64 v6, v1, v7, s2
	v_cmp_eq_f32_e64 s2, 0x42b17218, v6
	s_delay_alu instid0(VALU_DEP_1) | instskip(SKIP_1) | instid1(VALU_DEP_2)
	v_cndmask_b32_e64 v8, 0, 0x37000000, s2
	v_cmp_neq_f32_e64 s2, 0x7f800000, |v6|
	v_sub_f32_e32 v9, v6, v8
	v_trunc_f32_e32 v6, v4
	s_delay_alu instid0(VALU_DEP_2) | instskip(NEXT) | instid1(VALU_DEP_1)
	v_mul_f32_e32 v10, 0x3fb8aa3b, v9
	v_fma_f32 v11, 0x3fb8aa3b, v9, -v10
	v_rndne_f32_e32 v12, v10
	s_delay_alu instid0(VALU_DEP_1) | instskip(NEXT) | instid1(VALU_DEP_1)
	v_dual_fmamk_f32 v11, v9, 0x32a5705f, v11 :: v_dual_sub_f32 v10, v10, v12
	v_add_f32_e32 v10, v10, v11
	v_sub_f32_e32 v1, v1, v7
	v_cvt_i32_f32_e32 v7, v12
	s_delay_alu instid0(VALU_DEP_3) | instskip(NEXT) | instid1(VALU_DEP_2)
	v_exp_f32_e32 v10, v10
	v_sub_f32_e32 v1, v2, v1
	s_delay_alu instid0(VALU_DEP_1)
	v_cndmask_b32_e64 v1, 0, v1, s2
	v_cmp_ngt_f32_e64 s2, 0xc2ce8ed0, v9
	s_waitcnt_depctr 0xfff
	v_ldexp_f32 v2, v10, v7
	v_mul_f32_e32 v7, 0.5, v4
	v_add_f32_e32 v1, v8, v1
	s_delay_alu instid0(VALU_DEP_3) | instskip(NEXT) | instid1(VALU_DEP_3)
	v_cndmask_b32_e64 v2, 0, v2, s2
	v_trunc_f32_e32 v10, v7
	v_cmp_nlt_f32_e64 s2, 0x42b17218, v9
	s_delay_alu instid0(VALU_DEP_2) | instskip(NEXT) | instid1(VALU_DEP_2)
	v_cmp_neq_f32_e64 s3, v10, v7
	v_cndmask_b32_e64 v2, 0x7f800000, v2, s2
	v_cmp_eq_f32_e64 s2, v6, v4
	s_delay_alu instid0(VALU_DEP_2) | instskip(NEXT) | instid1(VALU_DEP_2)
	v_fma_f32 v1, v2, v1, v2
	s_and_b32 vcc_lo, s2, s3
	v_cmp_class_f32_e64 s3, v2, 0x204
	v_cndmask_b32_e32 v6, 1.0, v3, vcc_lo
	s_delay_alu instid0(VALU_DEP_2) | instskip(SKIP_1) | instid1(VALU_DEP_2)
	v_cndmask_b32_e64 v1, v1, v2, s3
	v_cmp_gt_f32_e64 s3, 0, v4
	v_bfi_b32 v1, 0x7fffffff, v1, v6
	s_delay_alu instid0(VALU_DEP_2)
	s_xor_b32 s3, s3, s4
	v_cndmask_b32_e32 v6, 0, v3, vcc_lo
	v_cndmask_b32_e64 v2, 0x7f800000, 0, s3
	v_cmp_eq_f32_e32 vcc_lo, 0x7f800000, v5
	v_cndmask_b32_e64 v4, 0x7fc00000, v1, s2
	v_cmp_gt_f32_e64 s2, 0, v3
	s_delay_alu instid0(VALU_DEP_4) | instskip(SKIP_1) | instid1(VALU_DEP_2)
	v_bfi_b32 v2, 0x7fffffff, v2, v6
	s_or_b32 vcc_lo, vcc_lo, s4
	v_cndmask_b32_e64 v1, v1, v4, s2
	s_delay_alu instid0(VALU_DEP_1) | instskip(SKIP_1) | instid1(VALU_DEP_2)
	v_cndmask_b32_e32 v1, v1, v2, vcc_lo
	v_cmp_o_f32_e32 vcc_lo, v3, v3
	v_cndmask_b32_e32 v24, 0x7fc00000, v1, vcc_lo
.LBB18_2:
	s_clause 0x1
	s_load_b128 s[48:51], s[0:1], 0x70
	s_load_b512 s[16:31], s[0:1], 0x0
	v_and_b32_e32 v21, 0x3ff, v0
	s_delay_alu instid0(VALU_DEP_1) | instskip(NEXT) | instid1(VALU_DEP_1)
	v_lshlrev_b32_e32 v19, 2, v21
	v_and_b32_e32 v20, 28, v19
	s_delay_alu instid0(VALU_DEP_1)
	v_lshlrev_b32_e32 v5, 3, v20
	s_waitcnt lgkmcnt(0)
	s_mul_i32 s2, s12, s50
	s_mul_i32 s3, s13, s48
	;; [unrolled: 1-line block ×3, first 2 shown]
	s_add_i32 s2, s2, s3
	s_delay_alu instid0(SALU_CYCLE_1) | instskip(NEXT) | instid1(SALU_CYCLE_1)
	s_add_i32 s2, s2, s4
	s_ashr_i32 s3, s2, 31
	s_add_u32 s2, s16, s2
	s_addc_u32 s3, s17, s3
	s_clause 0x3
	global_load_b128 v[9:12], v5, s[2:3] offset:16
	global_load_b128 v[13:16], v5, s[2:3]
	global_load_b128 v[1:4], v5, s[2:3] offset:272
	global_load_b128 v[5:8], v5, s[2:3] offset:256
	s_cmp_eq_u64 s[26:27], 0
	s_cbranch_scc1 .LBB18_4
; %bb.3:
	s_load_b32 s2, s[0:1], 0xd0
	s_mov_b32 s3, 0
	s_waitcnt lgkmcnt(0)
	s_mul_i32 s2, s2, s12
	s_delay_alu instid0(SALU_CYCLE_1) | instskip(NEXT) | instid1(SALU_CYCLE_1)
	s_add_i32 s2, s2, s13
	s_lshl_b64 s[2:3], s[2:3], 2
	s_delay_alu instid0(SALU_CYCLE_1)
	s_add_u32 s2, s26, s2
	s_addc_u32 s3, s27, s3
	s_load_b32 s42, s[2:3], 0x0
.LBB18_4:
	v_bfe_u32 v22, v0, 10, 10
	v_mbcnt_lo_u32_b32 v23, -1, 0
	s_lshl_b32 s16, s14, 7
	s_mov_b32 s17, 0
	s_waitcnt lgkmcnt(0)
	s_cmp_ge_i32 s16, s42
	v_lshlrev_b32_e32 v0, 5, v22
	s_delay_alu instid0(VALU_DEP_1) | instskip(NEXT) | instid1(VALU_DEP_1)
	v_dual_mov_b32 v32, 0 :: v_dual_add_nc_u32 v17, v0, v21
	v_lshlrev_b32_e32 v18, 1, v17
	s_cbranch_scc1 .LBB18_56
; %bb.5:
	s_sub_i32 s2, 0, s6
	s_sub_i32 s3, 0, s15
	s_mul_i32 s2, s2, s9
	s_mul_i32 s3, s3, s8
	s_mul_hi_u32 s2, s9, s2
	s_mul_hi_u32 s3, s8, s3
	s_abs_i32 s4, s40
	s_add_i32 s9, s9, s2
	s_abs_i32 s26, s12
	s_add_i32 s8, s8, s3
	s_mul_hi_u32 s27, s4, s9
	s_mul_hi_u32 s41, s26, s8
	s_clause 0x1
	s_load_b64 s[38:39], s[0:1], 0x8c
	s_load_b128 s[8:11], s[0:1], 0x98
	s_waitcnt vmcnt(2)
	v_cvt_f16_f32_e32 v13, v13
	v_cvt_f16_f32_e32 v14, v14
	;; [unrolled: 1-line block ×6, first 2 shown]
	s_waitcnt vmcnt(0)
	v_cvt_f16_f32_e32 v5, v5
	v_cvt_f16_f32_e32 v6, v6
	;; [unrolled: 1-line block ×9, first 2 shown]
	v_pack_b32_f16 v13, v13, v14
	v_pack_b32_f16 v9, v9, v10
	;; [unrolled: 1-line block ×6, first 2 shown]
	v_cvt_f16_f32_e32 v2, v3
	v_cvt_f16_f32_e32 v3, v4
	v_pack_b32_f16 v14, v15, v16
	v_pk_mul_f16 v8, v25, v9 op_sel_hi:[0,1]
	v_pk_mul_f16 v9, v25, v10 op_sel_hi:[0,1]
	;; [unrolled: 1-line block ×3, first 2 shown]
	v_pack_b32_f16 v2, v2, v3
	v_pk_mul_f16 v3, v25, v13 op_sel_hi:[0,1]
	v_pk_mul_f16 v13, v25, v6 op_sel_hi:[0,1]
	;; [unrolled: 1-line block ×4, first 2 shown]
	v_and_b32_e32 v4, 0x78, v21
	v_lshrrev_b32_e32 v5, 16, v3
	v_lshrrev_b32_e32 v10, 16, v8
	v_lshrrev_b32_e32 v12, 16, v9
	v_lshrrev_b32_e32 v14, 16, v11
	v_lshrrev_b32_e32 v15, 16, v13
	v_xor_b32_e32 v28, 2, v23
	v_and_b32_e32 v27, 24, v23
	s_ashr_i32 s43, s12, 31
	s_waitcnt lgkmcnt(0)
	s_mul_i32 s2, s12, s9
	s_mul_hi_u32 s3, s12, s8
	v_lshrrev_b32_e32 v6, 16, v7
	s_add_i32 s33, s3, s2
	s_mul_i32 s2, s43, s8
	v_lshrrev_b32_e32 v16, 16, v1
	v_xor_b32_e32 v29, 1, v23
	v_add_nc_u32_e32 v26, v0, v4
	v_cvt_f32_f16_e32 v4, v5
	v_cvt_f32_f16_e32 v5, v7
	;; [unrolled: 1-line block ×8, first 2 shown]
	v_add_nc_u32_e32 v1, 8, v27
	v_xor_b32_e32 v27, 4, v23
	s_add_i32 s33, s33, s2
	s_load_b64 s[2:3], s[0:1], 0xa8
	s_mul_i32 s9, s27, s6
	s_ashr_i32 s37, s40, 31
	v_cmp_lt_i32_e32 vcc_lo, v27, v1
	s_ashr_i32 s7, s7, 31
	s_sub_i32 s4, s4, s9
	v_pk_mul_f16 v2, v25, v2 op_sel_hi:[0,1]
	s_xor_b32 s7, s37, s7
	s_add_i32 s9, s27, 1
	s_sub_i32 s36, s4, s6
	v_cndmask_b32_e32 v30, v23, v27, vcc_lo
	v_cmp_lt_i32_e32 vcc_lo, v28, v1
	s_cmp_ge_u32 s4, s6
	v_cvt_f32_f16_e32 v25, v2
	s_cselect_b32 s9, s9, s27
	v_lshrrev_b32_e32 v2, 16, v2
	s_cselect_b32 s4, s36, s4
	s_add_i32 s27, s9, 1
	v_cndmask_b32_e32 v32, v23, v28, vcc_lo
	v_cmp_lt_i32_e32 vcc_lo, v29, v1
	s_cmp_ge_u32 s4, s6
	v_cvt_f32_f16_e32 v27, v2
	s_cselect_b32 s4, s27, s9
	v_xor_b32_e32 v2, 8, v23
	s_xor_b32 s4, s4, s7
	v_cndmask_b32_e32 v1, v23, v29, vcc_lo
	v_lshlrev_b32_e32 v29, 2, v32
	v_mul_lo_u32 v31, v26, s38
	s_sub_i32 s4, s4, s7
	s_waitcnt lgkmcnt(0)
	s_mul_i32 s3, s12, s3
	s_mul_hi_u32 s27, s12, s2
	s_clause 0x1
	s_load_b64 s[6:7], s[0:1], 0xc8
	s_load_b32 s9, s[0:1], 0xd4
	v_xor_b32_e32 v37, 16, v23
	v_cmp_gt_i32_e32 vcc_lo, 32, v2
	s_mul_i32 s36, s4, s39
	s_add_i32 s39, s27, s3
	s_mul_i32 s3, s43, s2
	s_mul_i32 s41, s41, s15
	s_add_i32 s39, s39, s3
	s_mul_i32 s44, s4, s11
	s_sub_i32 s3, s26, s41
	s_ashr_i32 s37, s36, 31
	s_ashr_i32 s41, s44, 31
	s_sub_i32 s4, s3, s15
	v_dual_cndmask_b32 v2, v23, v2 :: v_dual_add_nc_u32 v33, s38, v31
	v_cmp_gt_i32_e32 vcc_lo, 32, v37
	s_cmp_ge_u32 s3, s15
	v_lshlrev_b32_e32 v28, 2, v30
	s_cselect_b32 s3, s4, s3
	s_mul_i32 s48, s13, s5
	v_cndmask_b32_e32 v39, v23, v37, vcc_lo
	s_sub_i32 s4, s3, s15
	v_dual_mov_b32 v2, 0 :: v_dual_lshlrev_b32 v37, 2, v2
	v_add_nc_u32_e32 v32, s38, v33
	s_cmp_ge_u32 s3, s15
	s_mul_i32 s15, s12, s8
	s_cselect_b32 s3, s4, s3
	s_ashr_i32 s49, s48, 31
	s_xor_b32 s3, s3, s43
	v_add_nc_u32_e32 v35, s38, v32
	s_sub_i32 s3, s3, s43
	s_mul_i32 s51, s16, s38
	s_waitcnt lgkmcnt(0)
	s_mul_i32 s4, s3, s7
	s_mul_hi_u32 s7, s3, s6
	s_ashr_i32 s8, s3, 31
	v_add_nc_u32_e32 v38, s38, v35
	s_add_i32 s4, s7, s4
	s_mul_i32 s8, s8, s6
	v_dual_mov_b32 v75, 0xfeffffff :: v_dual_lshlrev_b32 v30, 2, v1
	s_add_i32 s46, s4, s8
	s_cmp_lg_u64 s[22:23], 0
	v_add_nc_u32_e32 v56, s38, v38
	s_cselect_b32 s11, -1, 0
	s_lshl_b32 s26, s9, 7
	v_and_b32_e32 v1, 7, v21
	v_lshrrev_b32_e32 v34, 3, v21
	s_add_u32 s51, s18, s51
	s_addc_u32 s52, s19, 0
	s_add_u32 s18, s51, s36
	v_add_nc_u32_e32 v48, s38, v56
	s_addc_u32 s19, s52, s37
	s_add_u32 s53, s18, s15
	s_mul_i32 s43, s12, s2
	s_mul_i32 s47, s3, s6
	v_cmp_eq_u32_e64 s2, 7, v1
	v_cmp_eq_u32_e64 s3, 0, v1
	;; [unrolled: 1-line block ×8, first 2 shown]
	v_lshlrev_b32_e32 v41, 4, v1
	s_addc_u32 s54, s19, s33
	s_lshl_b64 s[18:19], s[16:17], 1
	v_lshlrev_b32_e32 v1, 1, v26
	v_add_nc_u32_e32 v26, v34, v0
	s_mov_b32 s27, s17
	s_add_u32 s17, s47, s18
	v_add_nc_u32_e32 v42, s38, v48
	s_addc_u32 s18, s46, s19
	s_add_u32 s19, s22, s48
	s_addc_u32 s22, s23, s49
	v_add_nc_u32_e32 v44, 4, v26
	s_add_u32 s17, s19, s17
	v_or_b32_e32 v40, v0, v34
	v_mul_lo_u32 v34, s10, v26
	v_ashrrev_i32_e32 v43, 31, v42
	s_addc_u32 s18, s22, s18
	v_add_co_u32 v0, s17, s17, v1
	s_delay_alu instid0(VALU_DEP_1)
	v_add_co_ci_u32_e64 v1, null, s18, 0, s17
	s_lshl_b64 s[18:19], s[26:27], 1
	v_mul_lo_u32 v46, s10, v44
	s_mul_i32 s50, s16, s10
	v_add_co_u32 v42, vcc_lo, s53, v42
	s_add_u32 s17, s43, s44
	s_addc_u32 s22, s39, s41
	v_add_co_ci_u32_e32 v43, vcc_lo, s54, v43, vcc_lo
	s_add_u32 s20, s20, s50
	v_add_co_u32 v0, vcc_lo, v0, 14
	s_addc_u32 s21, s21, 0
	v_ashrrev_i32_e32 v45, 31, v34
	s_add_u32 s17, s20, s17
	v_add_co_ci_u32_e32 v1, vcc_lo, 0, v1, vcc_lo
	s_addc_u32 s22, s21, s22
	v_add_co_u32 v44, vcc_lo, s17, v34
	s_add_u32 s17, s20, s44
	v_ashrrev_i32_e32 v34, 31, v46
	v_add_nc_u32_e32 v47, 8, v26
	s_addc_u32 s20, s21, s41
	s_add_u32 s17, s17, s43
	v_add_co_ci_u32_e32 v45, vcc_lo, s22, v45, vcc_lo
	s_addc_u32 s20, s20, s39
	v_add_co_u32 v46, vcc_lo, s17, v46
	v_mul_lo_u32 v50, s10, v47
	v_add_co_ci_u32_e32 v47, vcc_lo, s20, v34, vcc_lo
	v_add_nc_u32_e32 v34, 12, v26
	v_add_nc_u32_e32 v52, 16, v26
	v_ashrrev_i32_e32 v49, 31, v48
	v_add_nc_u32_e32 v55, 20, v26
	v_add_co_u32 v48, vcc_lo, s53, v48
	v_mul_lo_u32 v34, s10, v34
	v_mul_lo_u32 v54, s10, v52
	v_ashrrev_i32_e32 v51, 31, v50
	v_add_co_ci_u32_e32 v49, vcc_lo, s54, v49, vcc_lo
	v_add_nc_u32_e32 v58, 24, v26
	v_add_co_u32 v50, vcc_lo, s17, v50
	v_ashrrev_i32_e32 v53, 31, v34
	v_mul_lo_u32 v59, s10, v55
	v_add_co_ci_u32_e32 v51, vcc_lo, s20, v51, vcc_lo
	v_add_co_u32 v52, vcc_lo, s17, v34
	v_ashrrev_i32_e32 v34, 31, v54
	v_mul_lo_u32 v60, s10, v58
	v_add_co_ci_u32_e32 v53, vcc_lo, s20, v53, vcc_lo
	v_add_nc_u32_e32 v26, 28, v26
	v_ashrrev_i32_e32 v57, 31, v56
	v_add_co_u32 v54, vcc_lo, s17, v54
	v_add_co_ci_u32_e32 v55, vcc_lo, s20, v34, vcc_lo
	v_add_co_u32 v56, vcc_lo, s53, v56
	v_ashrrev_i32_e32 v34, 31, v59
	v_mul_lo_u32 v26, s10, v26
	v_add_co_ci_u32_e32 v57, vcc_lo, s54, v57, vcc_lo
	v_ashrrev_i32_e32 v61, 31, v60
	v_add_co_u32 v58, vcc_lo, s17, v59
	v_add_co_ci_u32_e32 v59, vcc_lo, s20, v34, vcc_lo
	v_ashrrev_i32_e32 v63, 31, v38
	v_add_co_u32 v60, vcc_lo, s17, v60
	;; [unrolled: 3-line block ×3, first 2 shown]
	v_add_co_ci_u32_e32 v63, vcc_lo, s54, v63, vcc_lo
	s_add_u32 s15, s15, s36
	v_ashrrev_i32_e32 v36, 31, v31
	v_add_co_u32 v64, vcc_lo, s17, v26
	v_mov_b32_e32 v26, 0
	s_addc_u32 s17, s33, s37
	s_add_u32 s15, s51, s15
	v_add_co_ci_u32_e32 v65, vcc_lo, s20, v34, vcc_lo
	s_addc_u32 s17, s52, s17
	v_add_co_u32 v66, vcc_lo, s15, v31
	v_add_co_ci_u32_e32 v67, vcc_lo, s17, v36, vcc_lo
	v_mov_b32_e32 v36, 0
	v_ashrrev_i32_e32 v69, 31, v35
	v_ashrrev_i32_e32 v71, 31, v33
	v_add_co_u32 v68, vcc_lo, s53, v35
	v_cvt_f32_f16_e32 v3, v3
	s_delay_alu instid0(VALU_DEP_4)
	v_add_co_ci_u32_e32 v69, vcc_lo, s54, v69, vcc_lo
	v_add_co_u32 v70, vcc_lo, s53, v33
	v_mov_b32_e32 v33, 0
	v_ashrrev_i32_e32 v73, 31, v32
	v_add_co_ci_u32_e32 v71, vcc_lo, s54, v71, vcc_lo
	v_add_co_u32 v72, vcc_lo, s53, v32
	v_cvt_f32_f16_e32 v6, v6
	v_cvt_f32_f16_e32 v9, v9
	;; [unrolled: 1-line block ×5, first 2 shown]
	v_dual_mov_b32 v32, 0 :: v_dual_lshlrev_b32 v39, 2, v39
	v_lshlrev_b32_e32 v40, 1, v40
	v_add_co_ci_u32_e32 v73, vcc_lo, s54, v73, vcc_lo
	v_dual_mov_b32 v31, 0 :: v_dual_mov_b32 v34, 0
	v_dual_mov_b32 v35, 0 :: v_dual_mov_b32 v38, 0
	s_mul_i32 s15, s26, s38
	s_mul_i32 s10, s26, s10
	s_mov_b32 s17, 0xbbbac73d
                                        ; implicit-def: $vgpr74
.LBB18_6:                               ; =>This Inner Loop Header: Depth=1
	v_add_co_u32 v80, vcc_lo, v66, v41
	v_add_co_ci_u32_e32 v81, vcc_lo, 0, v67, vcc_lo
	s_clause 0x1
	global_load_b128 v[76:79], v[80:81], off
	global_load_b128 v[80:83], v[80:81], off offset:128
	s_waitcnt vmcnt(1)
	v_lshlrev_b32_e32 v84, 16, v76
	v_and_b32_e32 v76, 0xffff0000, v76
	s_delay_alu instid0(VALU_DEP_2) | instskip(NEXT) | instid1(VALU_DEP_1)
	v_fma_f32 v84, v84, v3, 0
	v_dual_fmac_f32 v84, v76, v4 :: v_dual_lshlrev_b32 v85, 16, v77
	v_and_b32_e32 v76, 0xffff0000, v77
	s_delay_alu instid0(VALU_DEP_2) | instskip(NEXT) | instid1(VALU_DEP_1)
	v_dual_fmac_f32 v84, v85, v5 :: v_dual_lshlrev_b32 v77, 16, v78
	v_fmac_f32_e32 v84, v76, v6
	v_and_b32_e32 v76, 0xffff0000, v78
	s_delay_alu instid0(VALU_DEP_2) | instskip(NEXT) | instid1(VALU_DEP_1)
	v_fmac_f32_e32 v84, v77, v7
	v_dual_fmac_f32 v84, v76, v8 :: v_dual_lshlrev_b32 v77, 16, v79
	v_and_b32_e32 v76, 0xffff0000, v79
	s_waitcnt vmcnt(0)
	s_delay_alu instid0(VALU_DEP_2) | instskip(NEXT) | instid1(VALU_DEP_1)
	v_dual_fmac_f32 v84, v77, v9 :: v_dual_lshlrev_b32 v77, 16, v80
	v_fmac_f32_e32 v84, v76, v10
	v_and_b32_e32 v76, 0xffff0000, v80
	s_delay_alu instid0(VALU_DEP_2) | instskip(NEXT) | instid1(VALU_DEP_1)
	v_fmac_f32_e32 v84, v11, v77
	v_dual_fmac_f32 v84, v12, v76 :: v_dual_lshlrev_b32 v77, 16, v81
	v_and_b32_e32 v76, 0xffff0000, v81
	s_delay_alu instid0(VALU_DEP_2) | instskip(NEXT) | instid1(VALU_DEP_1)
	v_dual_fmac_f32 v84, v13, v77 :: v_dual_lshlrev_b32 v77, 16, v82
	v_fmac_f32_e32 v84, v14, v76
	v_and_b32_e32 v76, 0xffff0000, v82
	s_delay_alu instid0(VALU_DEP_2) | instskip(NEXT) | instid1(VALU_DEP_1)
	v_dual_fmac_f32 v84, v15, v77 :: v_dual_and_b32 v77, 0xffff0000, v83
	v_fmac_f32_e32 v84, v16, v76
	v_lshlrev_b32_e32 v76, 16, v83
	s_delay_alu instid0(VALU_DEP_1) | instskip(NEXT) | instid1(VALU_DEP_1)
	v_fmac_f32_e32 v84, v25, v76
	v_fmac_f32_e32 v84, v27, v77
	ds_bpermute_b32 v76, v28, v84
	s_waitcnt lgkmcnt(0)
	v_add_f32_e32 v76, v84, v76
	ds_bpermute_b32 v77, v29, v76
	s_waitcnt lgkmcnt(0)
	v_add_f32_e32 v76, v76, v77
	;; [unrolled: 3-line block ×3, first 2 shown]
                                        ; implicit-def: $vgpr77
	s_delay_alu instid0(VALU_DEP_1) | instskip(NEXT) | instid1(VALU_DEP_1)
	v_cmp_ngt_f32_e64 s20, 0x3f200000, |v76|
	s_and_saveexec_b32 s21, s20
	s_delay_alu instid0(SALU_CYCLE_1)
	s_xor_b32 s20, exec_lo, s21
	s_cbranch_execz .LBB18_8
; %bb.7:                                ;   in Loop: Header=BB18_6 Depth=1
	v_add_f32_e64 v77, |v76|, |v76|
	s_delay_alu instid0(VALU_DEP_1) | instskip(SKIP_1) | instid1(VALU_DEP_2)
	v_mul_f32_e32 v78, 0x3fb8aa3b, v77
	v_cmp_ngt_f32_e32 vcc_lo, 0xc2ce8ed0, v77
	v_rndne_f32_e32 v79, v78
	v_fma_f32 v80, 0x3fb8aa3b, v77, -v78
	s_delay_alu instid0(VALU_DEP_2) | instskip(NEXT) | instid1(VALU_DEP_2)
	v_sub_f32_e32 v78, v78, v79
	v_fmac_f32_e32 v80, 0x32a5705f, v77
	v_cvt_i32_f32_e32 v79, v79
	s_delay_alu instid0(VALU_DEP_2) | instskip(NEXT) | instid1(VALU_DEP_1)
	v_add_f32_e32 v78, v78, v80
	v_exp_f32_e32 v78, v78
	s_waitcnt_depctr 0xfff
	v_ldexp_f32 v78, v78, v79
	s_delay_alu instid0(VALU_DEP_1) | instskip(SKIP_1) | instid1(VALU_DEP_2)
	v_cndmask_b32_e32 v78, 0, v78, vcc_lo
	v_cmp_nlt_f32_e32 vcc_lo, 0x42b17218, v77
	v_cndmask_b32_e32 v77, 0x7f800000, v78, vcc_lo
	s_delay_alu instid0(VALU_DEP_1) | instskip(NEXT) | instid1(VALU_DEP_1)
	v_add_f32_e32 v77, 1.0, v77
	v_rcp_f32_e32 v77, v77
	s_waitcnt_depctr 0xfff
	v_fma_f32 v77, v77, -2.0, 1.0
.LBB18_8:                               ;   in Loop: Header=BB18_6 Depth=1
	s_and_not1_saveexec_b32 s20, s20
; %bb.9:                                ;   in Loop: Header=BB18_6 Depth=1
	v_mul_f32_e32 v77, v76, v76
	s_delay_alu instid0(VALU_DEP_1) | instskip(NEXT) | instid1(VALU_DEP_1)
	v_fmaak_f32 v78, s17, v77, 0x3ca908c9
	v_fmaak_f32 v78, v77, v78, 0xbd5c1c4e
	s_delay_alu instid0(VALU_DEP_1) | instskip(NEXT) | instid1(VALU_DEP_1)
	v_fmaak_f32 v78, v77, v78, 0x3e088382
	v_fmaak_f32 v78, v77, v78, 0xbeaaaa99
	s_delay_alu instid0(VALU_DEP_1) | instskip(NEXT) | instid1(VALU_DEP_1)
	v_mul_f32_e64 v78, |v76|, v78
	v_fma_f32 v77, v77, v78, |v76|
; %bb.10:                               ;   in Loop: Header=BB18_6 Depth=1
	s_or_b32 exec_lo, exec_lo, s20
	s_delay_alu instid0(VALU_DEP_1) | instskip(SKIP_1) | instid1(VALU_DEP_1)
	v_bfi_b32 v76, 0x7fffffff, v77, v76
	s_and_not1_b32 vcc_lo, exec_lo, s11
	v_mul_f32_e32 v76, s45, v76
	s_cbranch_vccnz .LBB18_12
; %bb.11:                               ;   in Loop: Header=BB18_6 Depth=1
	global_load_u16 v77, v[0:1], off offset:-14
	s_waitcnt vmcnt(0)
	v_fma_mix_f32 v76, v24, v77, v76 op_sel_hi:[0,1,0]
.LBB18_12:                              ;   in Loop: Header=BB18_6 Depth=1
	v_add_co_u32 v81, vcc_lo, v70, v41
	v_add_co_ci_u32_e32 v82, vcc_lo, 0, v71, vcc_lo
	s_clause 0x1
	global_load_b128 v[77:80], v[81:82], off
	global_load_b128 v[81:84], v[81:82], off offset:128
	s_waitcnt vmcnt(1)
	v_lshlrev_b32_e32 v85, 16, v77
	v_and_b32_e32 v77, 0xffff0000, v77
	s_delay_alu instid0(VALU_DEP_2) | instskip(NEXT) | instid1(VALU_DEP_1)
	v_fma_f32 v85, v85, v3, 0
	v_dual_fmac_f32 v85, v77, v4 :: v_dual_lshlrev_b32 v86, 16, v78
	v_and_b32_e32 v77, 0xffff0000, v78
	s_delay_alu instid0(VALU_DEP_2) | instskip(NEXT) | instid1(VALU_DEP_1)
	v_dual_fmac_f32 v85, v86, v5 :: v_dual_lshlrev_b32 v78, 16, v79
	v_fmac_f32_e32 v85, v77, v6
	v_and_b32_e32 v77, 0xffff0000, v79
	s_delay_alu instid0(VALU_DEP_2) | instskip(NEXT) | instid1(VALU_DEP_1)
	v_dual_fmac_f32 v85, v78, v7 :: v_dual_lshlrev_b32 v78, 16, v80
	v_fmac_f32_e32 v85, v77, v8
	v_and_b32_e32 v77, 0xffff0000, v80
	s_delay_alu instid0(VALU_DEP_2) | instskip(SKIP_1) | instid1(VALU_DEP_1)
	v_fmac_f32_e32 v85, v78, v9
	s_waitcnt vmcnt(0)
	v_dual_fmac_f32 v85, v77, v10 :: v_dual_lshlrev_b32 v78, 16, v81
	v_and_b32_e32 v77, 0xffff0000, v81
	s_delay_alu instid0(VALU_DEP_2) | instskip(NEXT) | instid1(VALU_DEP_1)
	v_fmac_f32_e32 v85, v11, v78
	v_dual_fmac_f32 v85, v12, v77 :: v_dual_lshlrev_b32 v78, 16, v82
	v_and_b32_e32 v77, 0xffff0000, v82
	s_delay_alu instid0(VALU_DEP_2) | instskip(NEXT) | instid1(VALU_DEP_1)
	v_dual_fmac_f32 v85, v13, v78 :: v_dual_lshlrev_b32 v78, 16, v83
	v_fmac_f32_e32 v85, v14, v77
	v_and_b32_e32 v77, 0xffff0000, v83
	s_delay_alu instid0(VALU_DEP_2) | instskip(NEXT) | instid1(VALU_DEP_1)
	v_dual_fmac_f32 v85, v15, v78 :: v_dual_and_b32 v78, 0xffff0000, v84
	v_fmac_f32_e32 v85, v16, v77
	v_lshlrev_b32_e32 v77, 16, v84
	s_delay_alu instid0(VALU_DEP_1) | instskip(NEXT) | instid1(VALU_DEP_1)
	v_fmac_f32_e32 v85, v25, v77
	v_fmac_f32_e32 v85, v27, v78
	ds_bpermute_b32 v77, v28, v85
	s_waitcnt lgkmcnt(0)
	v_add_f32_e32 v77, v85, v77
	ds_bpermute_b32 v78, v29, v77
	s_waitcnt lgkmcnt(0)
	v_add_f32_e32 v77, v77, v78
	;; [unrolled: 3-line block ×3, first 2 shown]
                                        ; implicit-def: $vgpr78
	s_delay_alu instid0(VALU_DEP_1) | instskip(NEXT) | instid1(VALU_DEP_1)
	v_cmp_ngt_f32_e64 s20, 0x3f200000, |v77|
	s_and_saveexec_b32 s21, s20
	s_delay_alu instid0(SALU_CYCLE_1)
	s_xor_b32 s20, exec_lo, s21
	s_cbranch_execz .LBB18_14
; %bb.13:                               ;   in Loop: Header=BB18_6 Depth=1
	v_add_f32_e64 v78, |v77|, |v77|
	s_delay_alu instid0(VALU_DEP_1) | instskip(SKIP_1) | instid1(VALU_DEP_2)
	v_mul_f32_e32 v79, 0x3fb8aa3b, v78
	v_cmp_ngt_f32_e32 vcc_lo, 0xc2ce8ed0, v78
	v_rndne_f32_e32 v80, v79
	v_fma_f32 v81, 0x3fb8aa3b, v78, -v79
	s_delay_alu instid0(VALU_DEP_2) | instskip(NEXT) | instid1(VALU_DEP_2)
	v_sub_f32_e32 v79, v79, v80
	v_fmac_f32_e32 v81, 0x32a5705f, v78
	v_cvt_i32_f32_e32 v80, v80
	s_delay_alu instid0(VALU_DEP_2) | instskip(NEXT) | instid1(VALU_DEP_1)
	v_add_f32_e32 v79, v79, v81
	v_exp_f32_e32 v79, v79
	s_waitcnt_depctr 0xfff
	v_ldexp_f32 v79, v79, v80
	s_delay_alu instid0(VALU_DEP_1) | instskip(SKIP_1) | instid1(VALU_DEP_2)
	v_cndmask_b32_e32 v79, 0, v79, vcc_lo
	v_cmp_nlt_f32_e32 vcc_lo, 0x42b17218, v78
	v_cndmask_b32_e32 v78, 0x7f800000, v79, vcc_lo
	s_delay_alu instid0(VALU_DEP_1) | instskip(NEXT) | instid1(VALU_DEP_1)
	v_add_f32_e32 v78, 1.0, v78
	v_rcp_f32_e32 v78, v78
	s_waitcnt_depctr 0xfff
	v_fma_f32 v78, v78, -2.0, 1.0
.LBB18_14:                              ;   in Loop: Header=BB18_6 Depth=1
	s_and_not1_saveexec_b32 s20, s20
; %bb.15:                               ;   in Loop: Header=BB18_6 Depth=1
	v_mul_f32_e32 v78, v77, v77
	s_delay_alu instid0(VALU_DEP_1) | instskip(NEXT) | instid1(VALU_DEP_1)
	v_fmaak_f32 v79, s17, v78, 0x3ca908c9
	v_fmaak_f32 v79, v78, v79, 0xbd5c1c4e
	s_delay_alu instid0(VALU_DEP_1) | instskip(NEXT) | instid1(VALU_DEP_1)
	v_fmaak_f32 v79, v78, v79, 0x3e088382
	v_fmaak_f32 v79, v78, v79, 0xbeaaaa99
	s_delay_alu instid0(VALU_DEP_1) | instskip(NEXT) | instid1(VALU_DEP_1)
	v_mul_f32_e64 v79, |v77|, v79
	v_fma_f32 v78, v78, v79, |v77|
; %bb.16:                               ;   in Loop: Header=BB18_6 Depth=1
	s_or_b32 exec_lo, exec_lo, s20
	s_delay_alu instid0(VALU_DEP_1) | instskip(SKIP_1) | instid1(VALU_DEP_1)
	v_bfi_b32 v77, 0x7fffffff, v78, v77
	s_and_not1_b32 vcc_lo, exec_lo, s11
	v_mul_f32_e32 v77, s45, v77
	s_cbranch_vccnz .LBB18_18
; %bb.17:                               ;   in Loop: Header=BB18_6 Depth=1
	global_load_u16 v78, v[0:1], off offset:-12
	s_waitcnt vmcnt(0)
	v_fma_mix_f32 v77, v24, v78, v77 op_sel_hi:[0,1,0]
.LBB18_18:                              ;   in Loop: Header=BB18_6 Depth=1
	v_add_co_u32 v82, vcc_lo, v72, v41
	v_add_co_ci_u32_e32 v83, vcc_lo, 0, v73, vcc_lo
	s_clause 0x1
	global_load_b128 v[78:81], v[82:83], off
	global_load_b128 v[82:85], v[82:83], off offset:128
	s_waitcnt vmcnt(1)
	v_lshlrev_b32_e32 v86, 16, v78
	v_and_b32_e32 v78, 0xffff0000, v78
	s_delay_alu instid0(VALU_DEP_2) | instskip(NEXT) | instid1(VALU_DEP_1)
	v_fma_f32 v86, v86, v3, 0
	v_dual_fmac_f32 v86, v78, v4 :: v_dual_lshlrev_b32 v87, 16, v79
	v_and_b32_e32 v78, 0xffff0000, v79
	s_delay_alu instid0(VALU_DEP_2) | instskip(NEXT) | instid1(VALU_DEP_1)
	v_dual_fmac_f32 v86, v87, v5 :: v_dual_lshlrev_b32 v79, 16, v80
	v_fmac_f32_e32 v86, v78, v6
	v_and_b32_e32 v78, 0xffff0000, v80
	s_delay_alu instid0(VALU_DEP_2) | instskip(NEXT) | instid1(VALU_DEP_1)
	v_dual_fmac_f32 v86, v79, v7 :: v_dual_lshlrev_b32 v79, 16, v81
	v_fmac_f32_e32 v86, v78, v8
	v_and_b32_e32 v78, 0xffff0000, v81
	s_waitcnt vmcnt(0)
	s_delay_alu instid0(VALU_DEP_2) | instskip(NEXT) | instid1(VALU_DEP_1)
	v_dual_fmac_f32 v86, v79, v9 :: v_dual_lshlrev_b32 v79, 16, v82
	v_fmac_f32_e32 v86, v78, v10
	v_and_b32_e32 v78, 0xffff0000, v82
	s_delay_alu instid0(VALU_DEP_2) | instskip(NEXT) | instid1(VALU_DEP_1)
	v_fmac_f32_e32 v86, v11, v79
	v_dual_fmac_f32 v86, v12, v78 :: v_dual_lshlrev_b32 v79, 16, v83
	v_and_b32_e32 v78, 0xffff0000, v83
	s_delay_alu instid0(VALU_DEP_2) | instskip(NEXT) | instid1(VALU_DEP_1)
	v_dual_fmac_f32 v86, v13, v79 :: v_dual_lshlrev_b32 v79, 16, v84
	v_fmac_f32_e32 v86, v14, v78
	v_and_b32_e32 v78, 0xffff0000, v84
	s_delay_alu instid0(VALU_DEP_2) | instskip(NEXT) | instid1(VALU_DEP_1)
	v_dual_fmac_f32 v86, v15, v79 :: v_dual_and_b32 v79, 0xffff0000, v85
	v_fmac_f32_e32 v86, v16, v78
	v_lshlrev_b32_e32 v78, 16, v85
	s_delay_alu instid0(VALU_DEP_1) | instskip(NEXT) | instid1(VALU_DEP_1)
	v_fmac_f32_e32 v86, v25, v78
	v_fmac_f32_e32 v86, v27, v79
	ds_bpermute_b32 v78, v28, v86
	s_waitcnt lgkmcnt(0)
	v_add_f32_e32 v78, v86, v78
	ds_bpermute_b32 v79, v29, v78
	s_waitcnt lgkmcnt(0)
	v_add_f32_e32 v78, v78, v79
	;; [unrolled: 3-line block ×3, first 2 shown]
                                        ; implicit-def: $vgpr79
	s_delay_alu instid0(VALU_DEP_1) | instskip(NEXT) | instid1(VALU_DEP_1)
	v_cmp_ngt_f32_e64 s20, 0x3f200000, |v78|
	s_and_saveexec_b32 s21, s20
	s_delay_alu instid0(SALU_CYCLE_1)
	s_xor_b32 s20, exec_lo, s21
	s_cbranch_execz .LBB18_20
; %bb.19:                               ;   in Loop: Header=BB18_6 Depth=1
	v_add_f32_e64 v79, |v78|, |v78|
	s_delay_alu instid0(VALU_DEP_1) | instskip(SKIP_1) | instid1(VALU_DEP_2)
	v_mul_f32_e32 v80, 0x3fb8aa3b, v79
	v_cmp_ngt_f32_e32 vcc_lo, 0xc2ce8ed0, v79
	v_rndne_f32_e32 v81, v80
	v_fma_f32 v82, 0x3fb8aa3b, v79, -v80
	s_delay_alu instid0(VALU_DEP_2) | instskip(NEXT) | instid1(VALU_DEP_2)
	v_sub_f32_e32 v80, v80, v81
	v_fmac_f32_e32 v82, 0x32a5705f, v79
	v_cvt_i32_f32_e32 v81, v81
	s_delay_alu instid0(VALU_DEP_2) | instskip(NEXT) | instid1(VALU_DEP_1)
	v_add_f32_e32 v80, v80, v82
	v_exp_f32_e32 v80, v80
	s_waitcnt_depctr 0xfff
	v_ldexp_f32 v80, v80, v81
	s_delay_alu instid0(VALU_DEP_1) | instskip(SKIP_1) | instid1(VALU_DEP_2)
	v_cndmask_b32_e32 v80, 0, v80, vcc_lo
	v_cmp_nlt_f32_e32 vcc_lo, 0x42b17218, v79
	v_cndmask_b32_e32 v79, 0x7f800000, v80, vcc_lo
	s_delay_alu instid0(VALU_DEP_1) | instskip(NEXT) | instid1(VALU_DEP_1)
	v_add_f32_e32 v79, 1.0, v79
	v_rcp_f32_e32 v79, v79
	s_waitcnt_depctr 0xfff
	v_fma_f32 v79, v79, -2.0, 1.0
.LBB18_20:                              ;   in Loop: Header=BB18_6 Depth=1
	s_and_not1_saveexec_b32 s20, s20
; %bb.21:                               ;   in Loop: Header=BB18_6 Depth=1
	v_mul_f32_e32 v79, v78, v78
	s_delay_alu instid0(VALU_DEP_1) | instskip(NEXT) | instid1(VALU_DEP_1)
	v_fmaak_f32 v80, s17, v79, 0x3ca908c9
	v_fmaak_f32 v80, v79, v80, 0xbd5c1c4e
	s_delay_alu instid0(VALU_DEP_1) | instskip(NEXT) | instid1(VALU_DEP_1)
	v_fmaak_f32 v80, v79, v80, 0x3e088382
	v_fmaak_f32 v80, v79, v80, 0xbeaaaa99
	s_delay_alu instid0(VALU_DEP_1) | instskip(NEXT) | instid1(VALU_DEP_1)
	v_mul_f32_e64 v80, |v78|, v80
	v_fma_f32 v79, v79, v80, |v78|
; %bb.22:                               ;   in Loop: Header=BB18_6 Depth=1
	s_or_b32 exec_lo, exec_lo, s20
	s_delay_alu instid0(VALU_DEP_1) | instskip(SKIP_1) | instid1(VALU_DEP_1)
	v_bfi_b32 v78, 0x7fffffff, v79, v78
	s_and_not1_b32 vcc_lo, exec_lo, s11
	v_mul_f32_e32 v78, s45, v78
	s_cbranch_vccnz .LBB18_24
; %bb.23:                               ;   in Loop: Header=BB18_6 Depth=1
	global_load_u16 v79, v[0:1], off offset:-10
	s_waitcnt vmcnt(0)
	v_fma_mix_f32 v78, v24, v79, v78 op_sel_hi:[0,1,0]
.LBB18_24:                              ;   in Loop: Header=BB18_6 Depth=1
	v_add_co_u32 v83, vcc_lo, v68, v41
	v_add_co_ci_u32_e32 v84, vcc_lo, 0, v69, vcc_lo
	s_clause 0x1
	global_load_b128 v[79:82], v[83:84], off
	global_load_b128 v[83:86], v[83:84], off offset:128
	s_waitcnt vmcnt(1)
	v_lshlrev_b32_e32 v87, 16, v79
	v_and_b32_e32 v79, 0xffff0000, v79
	s_delay_alu instid0(VALU_DEP_2) | instskip(NEXT) | instid1(VALU_DEP_1)
	v_fma_f32 v87, v87, v3, 0
	v_fmac_f32_e32 v87, v79, v4
	v_and_b32_e32 v79, 0xffff0000, v80
	v_lshlrev_b32_e32 v88, 16, v80
	v_lshlrev_b32_e32 v80, 16, v81
	s_delay_alu instid0(VALU_DEP_2) | instskip(NEXT) | instid1(VALU_DEP_1)
	v_fmac_f32_e32 v87, v88, v5
	v_fmac_f32_e32 v87, v79, v6
	v_and_b32_e32 v79, 0xffff0000, v81
	s_delay_alu instid0(VALU_DEP_2) | instskip(NEXT) | instid1(VALU_DEP_1)
	v_dual_fmac_f32 v87, v80, v7 :: v_dual_lshlrev_b32 v80, 16, v82
	v_fmac_f32_e32 v87, v79, v8
	v_and_b32_e32 v79, 0xffff0000, v82
	s_waitcnt vmcnt(0)
	s_delay_alu instid0(VALU_DEP_2) | instskip(NEXT) | instid1(VALU_DEP_1)
	v_dual_fmac_f32 v87, v80, v9 :: v_dual_lshlrev_b32 v80, 16, v83
	v_fmac_f32_e32 v87, v79, v10
	v_and_b32_e32 v79, 0xffff0000, v83
	s_delay_alu instid0(VALU_DEP_2) | instskip(NEXT) | instid1(VALU_DEP_1)
	v_fmac_f32_e32 v87, v11, v80
	v_dual_fmac_f32 v87, v12, v79 :: v_dual_lshlrev_b32 v80, 16, v84
	v_and_b32_e32 v79, 0xffff0000, v84
	s_delay_alu instid0(VALU_DEP_2) | instskip(NEXT) | instid1(VALU_DEP_1)
	v_dual_fmac_f32 v87, v13, v80 :: v_dual_lshlrev_b32 v80, 16, v85
	v_fmac_f32_e32 v87, v14, v79
	v_and_b32_e32 v79, 0xffff0000, v85
	s_delay_alu instid0(VALU_DEP_2) | instskip(NEXT) | instid1(VALU_DEP_1)
	v_dual_fmac_f32 v87, v15, v80 :: v_dual_and_b32 v80, 0xffff0000, v86
	v_fmac_f32_e32 v87, v16, v79
	v_lshlrev_b32_e32 v79, 16, v86
	s_delay_alu instid0(VALU_DEP_1) | instskip(NEXT) | instid1(VALU_DEP_1)
	v_fmac_f32_e32 v87, v25, v79
	v_fmac_f32_e32 v87, v27, v80
	ds_bpermute_b32 v79, v28, v87
	s_waitcnt lgkmcnt(0)
	v_add_f32_e32 v79, v87, v79
	ds_bpermute_b32 v80, v29, v79
	s_waitcnt lgkmcnt(0)
	v_add_f32_e32 v79, v79, v80
	;; [unrolled: 3-line block ×3, first 2 shown]
                                        ; implicit-def: $vgpr80
	s_delay_alu instid0(VALU_DEP_1) | instskip(NEXT) | instid1(VALU_DEP_1)
	v_cmp_ngt_f32_e64 s20, 0x3f200000, |v79|
	s_and_saveexec_b32 s21, s20
	s_delay_alu instid0(SALU_CYCLE_1)
	s_xor_b32 s20, exec_lo, s21
	s_cbranch_execz .LBB18_26
; %bb.25:                               ;   in Loop: Header=BB18_6 Depth=1
	v_add_f32_e64 v80, |v79|, |v79|
	s_delay_alu instid0(VALU_DEP_1) | instskip(SKIP_1) | instid1(VALU_DEP_2)
	v_mul_f32_e32 v81, 0x3fb8aa3b, v80
	v_cmp_ngt_f32_e32 vcc_lo, 0xc2ce8ed0, v80
	v_rndne_f32_e32 v82, v81
	v_fma_f32 v83, 0x3fb8aa3b, v80, -v81
	s_delay_alu instid0(VALU_DEP_2) | instskip(NEXT) | instid1(VALU_DEP_2)
	v_sub_f32_e32 v81, v81, v82
	v_fmac_f32_e32 v83, 0x32a5705f, v80
	v_cvt_i32_f32_e32 v82, v82
	s_delay_alu instid0(VALU_DEP_2) | instskip(NEXT) | instid1(VALU_DEP_1)
	v_add_f32_e32 v81, v81, v83
	v_exp_f32_e32 v81, v81
	s_waitcnt_depctr 0xfff
	v_ldexp_f32 v81, v81, v82
	s_delay_alu instid0(VALU_DEP_1) | instskip(SKIP_1) | instid1(VALU_DEP_2)
	v_cndmask_b32_e32 v81, 0, v81, vcc_lo
	v_cmp_nlt_f32_e32 vcc_lo, 0x42b17218, v80
	v_cndmask_b32_e32 v80, 0x7f800000, v81, vcc_lo
	s_delay_alu instid0(VALU_DEP_1) | instskip(NEXT) | instid1(VALU_DEP_1)
	v_add_f32_e32 v80, 1.0, v80
	v_rcp_f32_e32 v80, v80
	s_waitcnt_depctr 0xfff
	v_fma_f32 v80, v80, -2.0, 1.0
.LBB18_26:                              ;   in Loop: Header=BB18_6 Depth=1
	s_and_not1_saveexec_b32 s20, s20
; %bb.27:                               ;   in Loop: Header=BB18_6 Depth=1
	v_mul_f32_e32 v80, v79, v79
	s_delay_alu instid0(VALU_DEP_1) | instskip(NEXT) | instid1(VALU_DEP_1)
	v_fmaak_f32 v81, s17, v80, 0x3ca908c9
	v_fmaak_f32 v81, v80, v81, 0xbd5c1c4e
	s_delay_alu instid0(VALU_DEP_1) | instskip(NEXT) | instid1(VALU_DEP_1)
	v_fmaak_f32 v81, v80, v81, 0x3e088382
	v_fmaak_f32 v81, v80, v81, 0xbeaaaa99
	s_delay_alu instid0(VALU_DEP_1) | instskip(NEXT) | instid1(VALU_DEP_1)
	v_mul_f32_e64 v81, |v79|, v81
	v_fma_f32 v80, v80, v81, |v79|
; %bb.28:                               ;   in Loop: Header=BB18_6 Depth=1
	s_or_b32 exec_lo, exec_lo, s20
	s_delay_alu instid0(VALU_DEP_1) | instskip(SKIP_1) | instid1(VALU_DEP_1)
	v_bfi_b32 v79, 0x7fffffff, v80, v79
	s_and_not1_b32 vcc_lo, exec_lo, s11
	v_mul_f32_e32 v79, s45, v79
	s_cbranch_vccnz .LBB18_30
; %bb.29:                               ;   in Loop: Header=BB18_6 Depth=1
	global_load_u16 v80, v[0:1], off offset:-8
	s_waitcnt vmcnt(0)
	v_fma_mix_f32 v79, v24, v80, v79 op_sel_hi:[0,1,0]
.LBB18_30:                              ;   in Loop: Header=BB18_6 Depth=1
	v_add_co_u32 v84, vcc_lo, v62, v41
	v_add_co_ci_u32_e32 v85, vcc_lo, 0, v63, vcc_lo
	s_clause 0x1
	global_load_b128 v[80:83], v[84:85], off
	global_load_b128 v[84:87], v[84:85], off offset:128
	s_waitcnt vmcnt(1)
	v_lshlrev_b32_e32 v88, 16, v80
	v_and_b32_e32 v80, 0xffff0000, v80
	s_delay_alu instid0(VALU_DEP_2) | instskip(NEXT) | instid1(VALU_DEP_1)
	v_fma_f32 v88, v88, v3, 0
	v_dual_fmac_f32 v88, v80, v4 :: v_dual_lshlrev_b32 v89, 16, v81
	v_and_b32_e32 v80, 0xffff0000, v81
	s_delay_alu instid0(VALU_DEP_2) | instskip(NEXT) | instid1(VALU_DEP_1)
	v_dual_fmac_f32 v88, v89, v5 :: v_dual_lshlrev_b32 v81, 16, v82
	v_fmac_f32_e32 v88, v80, v6
	v_and_b32_e32 v80, 0xffff0000, v82
	s_delay_alu instid0(VALU_DEP_2) | instskip(NEXT) | instid1(VALU_DEP_1)
	v_fmac_f32_e32 v88, v81, v7
	v_dual_fmac_f32 v88, v80, v8 :: v_dual_lshlrev_b32 v81, 16, v83
	v_and_b32_e32 v80, 0xffff0000, v83
	s_waitcnt vmcnt(0)
	s_delay_alu instid0(VALU_DEP_2) | instskip(NEXT) | instid1(VALU_DEP_1)
	v_dual_fmac_f32 v88, v81, v9 :: v_dual_lshlrev_b32 v81, 16, v84
	v_fmac_f32_e32 v88, v80, v10
	v_and_b32_e32 v80, 0xffff0000, v84
	s_delay_alu instid0(VALU_DEP_2) | instskip(NEXT) | instid1(VALU_DEP_1)
	v_fmac_f32_e32 v88, v11, v81
	v_dual_fmac_f32 v88, v12, v80 :: v_dual_lshlrev_b32 v81, 16, v85
	v_and_b32_e32 v80, 0xffff0000, v85
	s_delay_alu instid0(VALU_DEP_2) | instskip(NEXT) | instid1(VALU_DEP_1)
	v_dual_fmac_f32 v88, v13, v81 :: v_dual_lshlrev_b32 v81, 16, v86
	v_fmac_f32_e32 v88, v14, v80
	v_and_b32_e32 v80, 0xffff0000, v86
	s_delay_alu instid0(VALU_DEP_2) | instskip(NEXT) | instid1(VALU_DEP_1)
	v_dual_fmac_f32 v88, v15, v81 :: v_dual_and_b32 v81, 0xffff0000, v87
	v_fmac_f32_e32 v88, v16, v80
	v_lshlrev_b32_e32 v80, 16, v87
	s_delay_alu instid0(VALU_DEP_1) | instskip(NEXT) | instid1(VALU_DEP_1)
	v_fmac_f32_e32 v88, v25, v80
	v_fmac_f32_e32 v88, v27, v81
	ds_bpermute_b32 v80, v28, v88
	s_waitcnt lgkmcnt(0)
	v_add_f32_e32 v80, v88, v80
	ds_bpermute_b32 v81, v29, v80
	s_waitcnt lgkmcnt(0)
	v_add_f32_e32 v80, v80, v81
	;; [unrolled: 3-line block ×3, first 2 shown]
                                        ; implicit-def: $vgpr81
	s_delay_alu instid0(VALU_DEP_1) | instskip(NEXT) | instid1(VALU_DEP_1)
	v_cmp_ngt_f32_e64 s20, 0x3f200000, |v80|
	s_and_saveexec_b32 s21, s20
	s_delay_alu instid0(SALU_CYCLE_1)
	s_xor_b32 s20, exec_lo, s21
	s_cbranch_execz .LBB18_32
; %bb.31:                               ;   in Loop: Header=BB18_6 Depth=1
	v_add_f32_e64 v81, |v80|, |v80|
	s_delay_alu instid0(VALU_DEP_1) | instskip(SKIP_1) | instid1(VALU_DEP_2)
	v_mul_f32_e32 v82, 0x3fb8aa3b, v81
	v_cmp_ngt_f32_e32 vcc_lo, 0xc2ce8ed0, v81
	v_rndne_f32_e32 v83, v82
	v_fma_f32 v84, 0x3fb8aa3b, v81, -v82
	s_delay_alu instid0(VALU_DEP_2) | instskip(NEXT) | instid1(VALU_DEP_2)
	v_sub_f32_e32 v82, v82, v83
	v_fmac_f32_e32 v84, 0x32a5705f, v81
	v_cvt_i32_f32_e32 v83, v83
	s_delay_alu instid0(VALU_DEP_2) | instskip(NEXT) | instid1(VALU_DEP_1)
	v_add_f32_e32 v82, v82, v84
	v_exp_f32_e32 v82, v82
	s_waitcnt_depctr 0xfff
	v_ldexp_f32 v82, v82, v83
	s_delay_alu instid0(VALU_DEP_1) | instskip(SKIP_1) | instid1(VALU_DEP_2)
	v_cndmask_b32_e32 v82, 0, v82, vcc_lo
	v_cmp_nlt_f32_e32 vcc_lo, 0x42b17218, v81
	v_cndmask_b32_e32 v81, 0x7f800000, v82, vcc_lo
	s_delay_alu instid0(VALU_DEP_1) | instskip(NEXT) | instid1(VALU_DEP_1)
	v_add_f32_e32 v81, 1.0, v81
	v_rcp_f32_e32 v81, v81
	s_waitcnt_depctr 0xfff
	v_fma_f32 v81, v81, -2.0, 1.0
.LBB18_32:                              ;   in Loop: Header=BB18_6 Depth=1
	s_and_not1_saveexec_b32 s20, s20
; %bb.33:                               ;   in Loop: Header=BB18_6 Depth=1
	v_mul_f32_e32 v81, v80, v80
	s_delay_alu instid0(VALU_DEP_1) | instskip(NEXT) | instid1(VALU_DEP_1)
	v_fmaak_f32 v82, s17, v81, 0x3ca908c9
	v_fmaak_f32 v82, v81, v82, 0xbd5c1c4e
	s_delay_alu instid0(VALU_DEP_1) | instskip(NEXT) | instid1(VALU_DEP_1)
	v_fmaak_f32 v82, v81, v82, 0x3e088382
	v_fmaak_f32 v82, v81, v82, 0xbeaaaa99
	s_delay_alu instid0(VALU_DEP_1) | instskip(NEXT) | instid1(VALU_DEP_1)
	v_mul_f32_e64 v82, |v80|, v82
	v_fma_f32 v81, v81, v82, |v80|
; %bb.34:                               ;   in Loop: Header=BB18_6 Depth=1
	s_or_b32 exec_lo, exec_lo, s20
	s_delay_alu instid0(VALU_DEP_1) | instskip(SKIP_1) | instid1(VALU_DEP_1)
	v_bfi_b32 v80, 0x7fffffff, v81, v80
	s_and_not1_b32 vcc_lo, exec_lo, s11
	v_mul_f32_e32 v80, s45, v80
	s_cbranch_vccnz .LBB18_36
; %bb.35:                               ;   in Loop: Header=BB18_6 Depth=1
	global_load_u16 v81, v[0:1], off offset:-6
	s_waitcnt vmcnt(0)
	v_fma_mix_f32 v80, v24, v81, v80 op_sel_hi:[0,1,0]
.LBB18_36:                              ;   in Loop: Header=BB18_6 Depth=1
	v_add_co_u32 v85, vcc_lo, v56, v41
	v_add_co_ci_u32_e32 v86, vcc_lo, 0, v57, vcc_lo
	s_clause 0x1
	global_load_b128 v[81:84], v[85:86], off
	global_load_b128 v[85:88], v[85:86], off offset:128
	s_waitcnt vmcnt(1)
	v_lshlrev_b32_e32 v89, 16, v81
	v_and_b32_e32 v81, 0xffff0000, v81
	s_delay_alu instid0(VALU_DEP_2) | instskip(NEXT) | instid1(VALU_DEP_1)
	v_fma_f32 v89, v89, v3, 0
	v_dual_fmac_f32 v89, v81, v4 :: v_dual_lshlrev_b32 v90, 16, v82
	v_and_b32_e32 v81, 0xffff0000, v82
	s_delay_alu instid0(VALU_DEP_2) | instskip(NEXT) | instid1(VALU_DEP_1)
	v_dual_fmac_f32 v89, v90, v5 :: v_dual_lshlrev_b32 v82, 16, v83
	v_fmac_f32_e32 v89, v81, v6
	v_and_b32_e32 v81, 0xffff0000, v83
	s_delay_alu instid0(VALU_DEP_2) | instskip(NEXT) | instid1(VALU_DEP_1)
	v_dual_fmac_f32 v89, v82, v7 :: v_dual_lshlrev_b32 v82, 16, v84
	v_fmac_f32_e32 v89, v81, v8
	v_and_b32_e32 v81, 0xffff0000, v84
	s_delay_alu instid0(VALU_DEP_2) | instskip(SKIP_1) | instid1(VALU_DEP_1)
	v_fmac_f32_e32 v89, v82, v9
	s_waitcnt vmcnt(0)
	v_dual_fmac_f32 v89, v81, v10 :: v_dual_lshlrev_b32 v82, 16, v85
	v_and_b32_e32 v81, 0xffff0000, v85
	s_delay_alu instid0(VALU_DEP_2) | instskip(NEXT) | instid1(VALU_DEP_1)
	v_fmac_f32_e32 v89, v11, v82
	v_dual_fmac_f32 v89, v12, v81 :: v_dual_lshlrev_b32 v82, 16, v86
	v_and_b32_e32 v81, 0xffff0000, v86
	s_delay_alu instid0(VALU_DEP_2) | instskip(NEXT) | instid1(VALU_DEP_1)
	v_dual_fmac_f32 v89, v13, v82 :: v_dual_lshlrev_b32 v82, 16, v87
	v_fmac_f32_e32 v89, v14, v81
	v_and_b32_e32 v81, 0xffff0000, v87
	s_delay_alu instid0(VALU_DEP_2) | instskip(NEXT) | instid1(VALU_DEP_1)
	v_dual_fmac_f32 v89, v15, v82 :: v_dual_and_b32 v82, 0xffff0000, v88
	v_fmac_f32_e32 v89, v16, v81
	v_lshlrev_b32_e32 v81, 16, v88
	s_delay_alu instid0(VALU_DEP_1) | instskip(NEXT) | instid1(VALU_DEP_1)
	v_fmac_f32_e32 v89, v25, v81
	v_fmac_f32_e32 v89, v27, v82
	ds_bpermute_b32 v81, v28, v89
	s_waitcnt lgkmcnt(0)
	v_add_f32_e32 v81, v89, v81
	ds_bpermute_b32 v82, v29, v81
	s_waitcnt lgkmcnt(0)
	v_add_f32_e32 v81, v81, v82
	;; [unrolled: 3-line block ×3, first 2 shown]
                                        ; implicit-def: $vgpr82
	s_delay_alu instid0(VALU_DEP_1) | instskip(NEXT) | instid1(VALU_DEP_1)
	v_cmp_ngt_f32_e64 s20, 0x3f200000, |v81|
	s_and_saveexec_b32 s21, s20
	s_delay_alu instid0(SALU_CYCLE_1)
	s_xor_b32 s20, exec_lo, s21
	s_cbranch_execz .LBB18_38
; %bb.37:                               ;   in Loop: Header=BB18_6 Depth=1
	v_add_f32_e64 v82, |v81|, |v81|
	s_delay_alu instid0(VALU_DEP_1) | instskip(SKIP_1) | instid1(VALU_DEP_2)
	v_mul_f32_e32 v83, 0x3fb8aa3b, v82
	v_cmp_ngt_f32_e32 vcc_lo, 0xc2ce8ed0, v82
	v_rndne_f32_e32 v84, v83
	v_fma_f32 v85, 0x3fb8aa3b, v82, -v83
	s_delay_alu instid0(VALU_DEP_2) | instskip(NEXT) | instid1(VALU_DEP_2)
	v_sub_f32_e32 v83, v83, v84
	v_fmac_f32_e32 v85, 0x32a5705f, v82
	v_cvt_i32_f32_e32 v84, v84
	s_delay_alu instid0(VALU_DEP_2) | instskip(NEXT) | instid1(VALU_DEP_1)
	v_add_f32_e32 v83, v83, v85
	v_exp_f32_e32 v83, v83
	s_waitcnt_depctr 0xfff
	v_ldexp_f32 v83, v83, v84
	s_delay_alu instid0(VALU_DEP_1) | instskip(SKIP_1) | instid1(VALU_DEP_2)
	v_cndmask_b32_e32 v83, 0, v83, vcc_lo
	v_cmp_nlt_f32_e32 vcc_lo, 0x42b17218, v82
	v_cndmask_b32_e32 v82, 0x7f800000, v83, vcc_lo
	s_delay_alu instid0(VALU_DEP_1) | instskip(NEXT) | instid1(VALU_DEP_1)
	v_add_f32_e32 v82, 1.0, v82
	v_rcp_f32_e32 v82, v82
	s_waitcnt_depctr 0xfff
	v_fma_f32 v82, v82, -2.0, 1.0
.LBB18_38:                              ;   in Loop: Header=BB18_6 Depth=1
	s_and_not1_saveexec_b32 s20, s20
; %bb.39:                               ;   in Loop: Header=BB18_6 Depth=1
	v_mul_f32_e32 v82, v81, v81
	s_delay_alu instid0(VALU_DEP_1) | instskip(NEXT) | instid1(VALU_DEP_1)
	v_fmaak_f32 v83, s17, v82, 0x3ca908c9
	v_fmaak_f32 v83, v82, v83, 0xbd5c1c4e
	s_delay_alu instid0(VALU_DEP_1) | instskip(NEXT) | instid1(VALU_DEP_1)
	v_fmaak_f32 v83, v82, v83, 0x3e088382
	v_fmaak_f32 v83, v82, v83, 0xbeaaaa99
	s_delay_alu instid0(VALU_DEP_1) | instskip(NEXT) | instid1(VALU_DEP_1)
	v_mul_f32_e64 v83, |v81|, v83
	v_fma_f32 v82, v82, v83, |v81|
; %bb.40:                               ;   in Loop: Header=BB18_6 Depth=1
	s_or_b32 exec_lo, exec_lo, s20
	s_delay_alu instid0(VALU_DEP_1) | instskip(SKIP_1) | instid1(VALU_DEP_1)
	v_bfi_b32 v81, 0x7fffffff, v82, v81
	s_and_not1_b32 vcc_lo, exec_lo, s11
	v_mul_f32_e32 v81, s45, v81
	s_cbranch_vccnz .LBB18_42
; %bb.41:                               ;   in Loop: Header=BB18_6 Depth=1
	global_load_u16 v82, v[0:1], off offset:-4
	s_waitcnt vmcnt(0)
	v_fma_mix_f32 v81, v24, v82, v81 op_sel_hi:[0,1,0]
.LBB18_42:                              ;   in Loop: Header=BB18_6 Depth=1
	v_add_co_u32 v86, vcc_lo, v48, v41
	v_add_co_ci_u32_e32 v87, vcc_lo, 0, v49, vcc_lo
	s_clause 0x1
	global_load_b128 v[82:85], v[86:87], off
	global_load_b128 v[86:89], v[86:87], off offset:128
	s_waitcnt vmcnt(1)
	v_lshlrev_b32_e32 v90, 16, v82
	v_and_b32_e32 v82, 0xffff0000, v82
	s_delay_alu instid0(VALU_DEP_2) | instskip(NEXT) | instid1(VALU_DEP_1)
	v_fma_f32 v90, v90, v3, 0
	v_dual_fmac_f32 v90, v82, v4 :: v_dual_lshlrev_b32 v91, 16, v83
	v_and_b32_e32 v82, 0xffff0000, v83
	s_delay_alu instid0(VALU_DEP_2) | instskip(NEXT) | instid1(VALU_DEP_1)
	v_dual_fmac_f32 v90, v91, v5 :: v_dual_lshlrev_b32 v83, 16, v84
	v_fmac_f32_e32 v90, v82, v6
	v_and_b32_e32 v82, 0xffff0000, v84
	s_delay_alu instid0(VALU_DEP_2) | instskip(NEXT) | instid1(VALU_DEP_1)
	v_dual_fmac_f32 v90, v83, v7 :: v_dual_lshlrev_b32 v83, 16, v85
	v_fmac_f32_e32 v90, v82, v8
	v_and_b32_e32 v82, 0xffff0000, v85
	s_waitcnt vmcnt(0)
	s_delay_alu instid0(VALU_DEP_2) | instskip(NEXT) | instid1(VALU_DEP_1)
	v_dual_fmac_f32 v90, v83, v9 :: v_dual_lshlrev_b32 v83, 16, v86
	v_fmac_f32_e32 v90, v82, v10
	v_and_b32_e32 v82, 0xffff0000, v86
	s_delay_alu instid0(VALU_DEP_2) | instskip(NEXT) | instid1(VALU_DEP_1)
	v_fmac_f32_e32 v90, v11, v83
	v_dual_fmac_f32 v90, v12, v82 :: v_dual_lshlrev_b32 v83, 16, v87
	v_and_b32_e32 v82, 0xffff0000, v87
	s_delay_alu instid0(VALU_DEP_2) | instskip(NEXT) | instid1(VALU_DEP_1)
	v_dual_fmac_f32 v90, v13, v83 :: v_dual_lshlrev_b32 v83, 16, v88
	v_fmac_f32_e32 v90, v14, v82
	v_and_b32_e32 v82, 0xffff0000, v88
	s_delay_alu instid0(VALU_DEP_2) | instskip(NEXT) | instid1(VALU_DEP_1)
	v_dual_fmac_f32 v90, v15, v83 :: v_dual_and_b32 v83, 0xffff0000, v89
	v_fmac_f32_e32 v90, v16, v82
	v_lshlrev_b32_e32 v82, 16, v89
	s_delay_alu instid0(VALU_DEP_1) | instskip(NEXT) | instid1(VALU_DEP_1)
	v_fmac_f32_e32 v90, v25, v82
	v_fmac_f32_e32 v90, v27, v83
	ds_bpermute_b32 v82, v28, v90
	s_waitcnt lgkmcnt(0)
	v_add_f32_e32 v82, v90, v82
	ds_bpermute_b32 v83, v29, v82
	s_waitcnt lgkmcnt(0)
	v_add_f32_e32 v82, v82, v83
	;; [unrolled: 3-line block ×3, first 2 shown]
                                        ; implicit-def: $vgpr83
	s_delay_alu instid0(VALU_DEP_1) | instskip(NEXT) | instid1(VALU_DEP_1)
	v_cmp_ngt_f32_e64 s20, 0x3f200000, |v82|
	s_and_saveexec_b32 s21, s20
	s_delay_alu instid0(SALU_CYCLE_1)
	s_xor_b32 s20, exec_lo, s21
	s_cbranch_execz .LBB18_44
; %bb.43:                               ;   in Loop: Header=BB18_6 Depth=1
	v_add_f32_e64 v83, |v82|, |v82|
	s_delay_alu instid0(VALU_DEP_1) | instskip(SKIP_1) | instid1(VALU_DEP_2)
	v_mul_f32_e32 v84, 0x3fb8aa3b, v83
	v_cmp_ngt_f32_e32 vcc_lo, 0xc2ce8ed0, v83
	v_rndne_f32_e32 v85, v84
	v_fma_f32 v86, 0x3fb8aa3b, v83, -v84
	s_delay_alu instid0(VALU_DEP_2) | instskip(NEXT) | instid1(VALU_DEP_2)
	v_sub_f32_e32 v84, v84, v85
	v_fmac_f32_e32 v86, 0x32a5705f, v83
	v_cvt_i32_f32_e32 v85, v85
	s_delay_alu instid0(VALU_DEP_2) | instskip(NEXT) | instid1(VALU_DEP_1)
	v_add_f32_e32 v84, v84, v86
	v_exp_f32_e32 v84, v84
	s_waitcnt_depctr 0xfff
	v_ldexp_f32 v84, v84, v85
	s_delay_alu instid0(VALU_DEP_1) | instskip(SKIP_1) | instid1(VALU_DEP_2)
	v_cndmask_b32_e32 v84, 0, v84, vcc_lo
	v_cmp_nlt_f32_e32 vcc_lo, 0x42b17218, v83
	v_cndmask_b32_e32 v83, 0x7f800000, v84, vcc_lo
	s_delay_alu instid0(VALU_DEP_1) | instskip(NEXT) | instid1(VALU_DEP_1)
	v_add_f32_e32 v83, 1.0, v83
	v_rcp_f32_e32 v83, v83
	s_waitcnt_depctr 0xfff
	v_fma_f32 v83, v83, -2.0, 1.0
.LBB18_44:                              ;   in Loop: Header=BB18_6 Depth=1
	s_and_not1_saveexec_b32 s20, s20
; %bb.45:                               ;   in Loop: Header=BB18_6 Depth=1
	v_mul_f32_e32 v83, v82, v82
	s_delay_alu instid0(VALU_DEP_1) | instskip(NEXT) | instid1(VALU_DEP_1)
	v_fmaak_f32 v84, s17, v83, 0x3ca908c9
	v_fmaak_f32 v84, v83, v84, 0xbd5c1c4e
	s_delay_alu instid0(VALU_DEP_1) | instskip(NEXT) | instid1(VALU_DEP_1)
	v_fmaak_f32 v84, v83, v84, 0x3e088382
	v_fmaak_f32 v84, v83, v84, 0xbeaaaa99
	s_delay_alu instid0(VALU_DEP_1) | instskip(NEXT) | instid1(VALU_DEP_1)
	v_mul_f32_e64 v84, |v82|, v84
	v_fma_f32 v83, v83, v84, |v82|
; %bb.46:                               ;   in Loop: Header=BB18_6 Depth=1
	s_or_b32 exec_lo, exec_lo, s20
	s_delay_alu instid0(VALU_DEP_1) | instskip(SKIP_1) | instid1(VALU_DEP_1)
	v_bfi_b32 v82, 0x7fffffff, v83, v82
	s_and_not1_b32 vcc_lo, exec_lo, s11
	v_mul_f32_e32 v82, s45, v82
	s_cbranch_vccnz .LBB18_48
; %bb.47:                               ;   in Loop: Header=BB18_6 Depth=1
	global_load_u16 v83, v[0:1], off offset:-2
	s_waitcnt vmcnt(0)
	v_fma_mix_f32 v82, v24, v83, v82 op_sel_hi:[0,1,0]
.LBB18_48:                              ;   in Loop: Header=BB18_6 Depth=1
	v_add_co_u32 v87, vcc_lo, v42, v41
	v_add_co_ci_u32_e32 v88, vcc_lo, 0, v43, vcc_lo
	s_clause 0x1
	global_load_b128 v[83:86], v[87:88], off
	global_load_b128 v[87:90], v[87:88], off offset:128
	s_waitcnt vmcnt(1)
	v_lshlrev_b32_e32 v91, 16, v83
	v_and_b32_e32 v83, 0xffff0000, v83
	s_delay_alu instid0(VALU_DEP_2) | instskip(NEXT) | instid1(VALU_DEP_1)
	v_fma_f32 v91, v91, v3, 0
	v_fmac_f32_e32 v91, v83, v4
	v_and_b32_e32 v83, 0xffff0000, v84
	v_lshlrev_b32_e32 v92, 16, v84
	v_lshlrev_b32_e32 v84, 16, v85
	s_delay_alu instid0(VALU_DEP_2) | instskip(NEXT) | instid1(VALU_DEP_1)
	v_fmac_f32_e32 v91, v92, v5
	v_fmac_f32_e32 v91, v83, v6
	v_and_b32_e32 v83, 0xffff0000, v85
	s_delay_alu instid0(VALU_DEP_2) | instskip(NEXT) | instid1(VALU_DEP_1)
	v_dual_fmac_f32 v91, v84, v7 :: v_dual_lshlrev_b32 v84, 16, v86
	v_fmac_f32_e32 v91, v83, v8
	v_and_b32_e32 v83, 0xffff0000, v86
	s_waitcnt vmcnt(0)
	s_delay_alu instid0(VALU_DEP_2) | instskip(NEXT) | instid1(VALU_DEP_1)
	v_dual_fmac_f32 v91, v84, v9 :: v_dual_lshlrev_b32 v84, 16, v87
	v_fmac_f32_e32 v91, v83, v10
	v_and_b32_e32 v83, 0xffff0000, v87
	s_delay_alu instid0(VALU_DEP_2) | instskip(NEXT) | instid1(VALU_DEP_1)
	v_dual_fmac_f32 v91, v84, v11 :: v_dual_lshlrev_b32 v84, 16, v88
	v_fmac_f32_e32 v91, v83, v12
	v_and_b32_e32 v83, 0xffff0000, v88
	s_delay_alu instid0(VALU_DEP_2) | instskip(NEXT) | instid1(VALU_DEP_1)
	v_fmac_f32_e32 v91, v84, v13
	v_dual_fmac_f32 v91, v83, v14 :: v_dual_lshlrev_b32 v84, 16, v89
	v_and_b32_e32 v83, 0xffff0000, v89
	s_delay_alu instid0(VALU_DEP_2) | instskip(NEXT) | instid1(VALU_DEP_1)
	v_dual_fmac_f32 v91, v84, v15 :: v_dual_and_b32 v84, 0xffff0000, v90
	v_fmac_f32_e32 v91, v83, v16
	v_lshlrev_b32_e32 v83, 16, v90
	s_delay_alu instid0(VALU_DEP_1) | instskip(NEXT) | instid1(VALU_DEP_1)
	v_fmac_f32_e32 v91, v83, v25
	v_fmac_f32_e32 v91, v84, v27
	ds_bpermute_b32 v83, v28, v91
	s_waitcnt lgkmcnt(0)
	v_add_f32_e32 v83, v91, v83
	ds_bpermute_b32 v84, v29, v83
	s_waitcnt lgkmcnt(0)
	v_add_f32_e32 v83, v83, v84
	;; [unrolled: 3-line block ×3, first 2 shown]
                                        ; implicit-def: $vgpr84
	s_delay_alu instid0(VALU_DEP_1) | instskip(NEXT) | instid1(VALU_DEP_1)
	v_cmp_ngt_f32_e64 s20, 0x3f200000, |v83|
	s_and_saveexec_b32 s21, s20
	s_delay_alu instid0(SALU_CYCLE_1)
	s_xor_b32 s20, exec_lo, s21
	s_cbranch_execz .LBB18_50
; %bb.49:                               ;   in Loop: Header=BB18_6 Depth=1
	v_add_f32_e64 v84, |v83|, |v83|
	s_delay_alu instid0(VALU_DEP_1) | instskip(SKIP_1) | instid1(VALU_DEP_2)
	v_mul_f32_e32 v85, 0x3fb8aa3b, v84
	v_cmp_ngt_f32_e32 vcc_lo, 0xc2ce8ed0, v84
	v_rndne_f32_e32 v86, v85
	v_fma_f32 v87, 0x3fb8aa3b, v84, -v85
	s_delay_alu instid0(VALU_DEP_2) | instskip(NEXT) | instid1(VALU_DEP_2)
	v_sub_f32_e32 v85, v85, v86
	v_fmac_f32_e32 v87, 0x32a5705f, v84
	v_cvt_i32_f32_e32 v86, v86
	s_delay_alu instid0(VALU_DEP_2) | instskip(NEXT) | instid1(VALU_DEP_1)
	v_add_f32_e32 v85, v85, v87
	v_exp_f32_e32 v85, v85
	s_waitcnt_depctr 0xfff
	v_ldexp_f32 v85, v85, v86
	s_delay_alu instid0(VALU_DEP_1) | instskip(SKIP_1) | instid1(VALU_DEP_2)
	v_cndmask_b32_e32 v85, 0, v85, vcc_lo
	v_cmp_nlt_f32_e32 vcc_lo, 0x42b17218, v84
	v_cndmask_b32_e32 v84, 0x7f800000, v85, vcc_lo
	s_delay_alu instid0(VALU_DEP_1) | instskip(NEXT) | instid1(VALU_DEP_1)
	v_add_f32_e32 v84, 1.0, v84
	v_rcp_f32_e32 v84, v84
	s_waitcnt_depctr 0xfff
	v_fma_f32 v84, v84, -2.0, 1.0
.LBB18_50:                              ;   in Loop: Header=BB18_6 Depth=1
	s_and_not1_saveexec_b32 s20, s20
; %bb.51:                               ;   in Loop: Header=BB18_6 Depth=1
	v_mul_f32_e32 v84, v83, v83
	s_delay_alu instid0(VALU_DEP_1) | instskip(NEXT) | instid1(VALU_DEP_1)
	v_fmaak_f32 v85, s17, v84, 0x3ca908c9
	v_fmaak_f32 v85, v84, v85, 0xbd5c1c4e
	s_delay_alu instid0(VALU_DEP_1) | instskip(NEXT) | instid1(VALU_DEP_1)
	v_fmaak_f32 v85, v84, v85, 0x3e088382
	v_fmaak_f32 v85, v84, v85, 0xbeaaaa99
	s_delay_alu instid0(VALU_DEP_1) | instskip(NEXT) | instid1(VALU_DEP_1)
	v_mul_f32_e64 v85, |v83|, v85
	v_fma_f32 v84, v84, v85, |v83|
; %bb.52:                               ;   in Loop: Header=BB18_6 Depth=1
	s_or_b32 exec_lo, exec_lo, s20
	s_delay_alu instid0(VALU_DEP_1) | instskip(SKIP_1) | instid1(VALU_DEP_1)
	v_bfi_b32 v83, 0x7fffffff, v84, v83
	s_and_not1_b32 vcc_lo, exec_lo, s11
	v_mul_f32_e32 v83, s45, v83
	s_cbranch_vccnz .LBB18_54
; %bb.53:                               ;   in Loop: Header=BB18_6 Depth=1
	global_load_u16 v84, v[0:1], off
	s_waitcnt vmcnt(0)
	v_fma_mix_f32 v83, v24, v84, v83 op_sel_hi:[0,1,0]
.LBB18_54:                              ;   in Loop: Header=BB18_6 Depth=1
	v_add_co_u32 v88, vcc_lo, v44, v41
	v_add_co_ci_u32_e32 v89, vcc_lo, 0, v45, vcc_lo
	v_dual_add_f32 v92, 0x40051340, v76 :: v_dual_add_f32 v93, 0x40051340, v77
	v_dual_add_f32 v94, 0x40051340, v78 :: v_dual_add_f32 v95, 0x40051340, v79
	s_clause 0x1
	global_load_b128 v[84:87], v[88:89], off
	global_load_b128 v[88:91], v[88:89], off offset:128
	v_add_f32_e32 v96, 0x40051340, v81
	v_max3_f32 v92, v75, v92, v93
	v_add_f32_e32 v93, 0x40051340, v80
	v_cndmask_b32_e64 v74, v74, v76, s3
	s_add_i32 s16, s16, s26
	s_delay_alu instid0(VALU_DEP_3) | instskip(SKIP_1) | instid1(VALU_DEP_3)
	v_max3_f32 v92, v92, v94, v95
	v_dual_add_f32 v94, 0x40051340, v82 :: v_dual_add_f32 v95, 0x40051340, v83
	v_cndmask_b32_e64 v74, v74, v77, s4
	s_cmp_ge_i32 s16, s42
	s_delay_alu instid0(VALU_DEP_3) | instskip(NEXT) | instid1(VALU_DEP_2)
	v_max3_f32 v92, v92, v93, v96
	v_cndmask_b32_e64 v74, v74, v78, s5
	s_delay_alu instid0(VALU_DEP_2) | instskip(NEXT) | instid1(VALU_DEP_2)
	v_max3_f32 v92, v92, v94, v95
	v_cndmask_b32_e64 v74, v74, v79, s6
	ds_bpermute_b32 v93, v37, v92
	v_cndmask_b32_e64 v74, v74, v80, s7
	s_delay_alu instid0(VALU_DEP_1) | instskip(SKIP_1) | instid1(VALU_DEP_2)
	v_cndmask_b32_e64 v74, v74, v81, s8
	v_add_co_u32 v81, vcc_lo, v46, v41
	v_cndmask_b32_e64 v74, v74, v82, s9
	v_add_co_ci_u32_e32 v82, vcc_lo, 0, v47, vcc_lo
	v_add_co_u32 v100, vcc_lo, v50, v41
	s_delay_alu instid0(VALU_DEP_3)
	v_cndmask_b32_e64 v74, v74, v83, s2
	v_add_co_ci_u32_e32 v101, vcc_lo, 0, v51, vcc_lo
	s_waitcnt lgkmcnt(0)
	v_max_f32_e32 v76, v93, v93
	v_add_co_u32 v108, vcc_lo, v52, v41
	v_add_co_ci_u32_e32 v109, vcc_lo, 0, v53, vcc_lo
	s_delay_alu instid0(VALU_DEP_3)
	v_max_f32_e32 v76, v92, v76
	v_add_co_u32 v116, vcc_lo, v54, v41
	v_add_co_ci_u32_e32 v117, vcc_lo, 0, v55, vcc_lo
	ds_bpermute_b32 v77, v39, v76
	s_waitcnt lgkmcnt(0)
	v_max_f32_e32 v77, v77, v77
	s_delay_alu instid0(VALU_DEP_1) | instskip(NEXT) | instid1(VALU_DEP_1)
	v_max_f32_e32 v76, v76, v77
	v_sub_f32_e32 v74, v74, v76
	s_delay_alu instid0(VALU_DEP_1) | instskip(NEXT) | instid1(VALU_DEP_1)
	v_mul_f32_e32 v77, 0x3fb8aa3b, v74
	v_fma_f32 v78, 0x3fb8aa3b, v74, -v77
	v_rndne_f32_e32 v79, v77
	s_delay_alu instid0(VALU_DEP_1) | instskip(SKIP_2) | instid1(VALU_DEP_3)
	v_dual_fmac_f32 v78, 0x32a5705f, v74 :: v_dual_sub_f32 v77, v77, v79
	v_sub_f32_e32 v75, v75, v76
	v_cvt_i32_f32_e32 v79, v79
	v_add_f32_e32 v77, v77, v78
	v_cmp_ngt_f32_e32 vcc_lo, 0xc2ce8ed0, v74
	s_delay_alu instid0(VALU_DEP_2) | instskip(SKIP_2) | instid1(VALU_DEP_1)
	v_exp_f32_e32 v77, v77
	s_waitcnt_depctr 0xfff
	v_ldexp_f32 v77, v77, v79
	v_dual_mul_f32 v80, 0x3fb8aa3b, v75 :: v_dual_cndmask_b32 v93, 0, v77
	v_add_co_u32 v124, vcc_lo, v58, v41
	v_add_co_ci_u32_e32 v125, vcc_lo, 0, v59, vcc_lo
	v_cmp_nlt_f32_e32 vcc_lo, 0x42b17218, v74
	s_delay_alu instid0(VALU_DEP_4) | instskip(SKIP_4) | instid1(VALU_DEP_4)
	v_fma_f32 v78, 0x3fb8aa3b, v75, -v80
	v_rndne_f32_e32 v83, v80
	v_cndmask_b32_e32 v74, 0x7f800000, v93, vcc_lo
	v_add_co_u32 v132, vcc_lo, v60, v41
	v_add_co_ci_u32_e32 v133, vcc_lo, 0, v61, vcc_lo
	v_sub_f32_e32 v80, v80, v83
	v_cmp_ngt_f32_e32 vcc_lo, 0xc2ce8ed0, v75
	v_fmac_f32_e32 v78, 0x32a5705f, v75
	v_cvt_f16_f32_e32 v105, v74
	s_delay_alu instid0(VALU_DEP_2)
	v_add_f32_e32 v92, v80, v78
	global_load_b128 v[77:80], v[81:82], off
	v_exp_f32_e32 v104, v92
	global_load_b128 v[92:95], v[81:82], off offset:128
	s_clause 0x1
	global_load_b128 v[96:99], v[100:101], off
	global_load_b128 v[100:103], v[100:101], off offset:128
	ds_store_b16 v18, v105
	ds_load_u16 v82, v40
	v_cvt_i32_f32_e32 v81, v83
	s_delay_alu instid0(VALU_DEP_1)
	v_ldexp_f32 v81, v104, v81
	s_clause 0x1
	global_load_b128 v[104:107], v[108:109], off
	global_load_b128 v[108:111], v[108:109], off offset:128
	s_clause 0x1
	global_load_b128 v[112:115], v[116:117], off
	global_load_b128 v[116:119], v[116:117], off offset:128
	;; [unrolled: 3-line block ×3, first 2 shown]
	global_load_b128 v[128:131], v[132:133], off
	ds_load_u16 v136, v40 offset:8
	ds_load_u16 v137, v40 offset:16
	;; [unrolled: 1-line block ×7, first 2 shown]
	v_cndmask_b32_e32 v81, 0, v81, vcc_lo
	v_cmp_nlt_f32_e32 vcc_lo, 0x42b17218, v75
	s_delay_alu instid0(VALU_DEP_2) | instskip(NEXT) | instid1(VALU_DEP_1)
	v_cndmask_b32_e32 v75, 0x7f800000, v81, vcc_lo
	v_cvt_f16_f32_e64 v145, v75
	v_fma_f32 v26, v26, v75, v74
	s_waitcnt vmcnt(12) lgkmcnt(7)
	v_pk_mul_f16 v134, v82, v84 op_sel_hi:[0,1]
	s_waitcnt vmcnt(11)
	v_pk_mul_f16 v143, v82, v89 op_sel_hi:[0,1]
	v_add_co_u32 v89, vcc_lo, v64, v41
	v_pk_mul_f16 v85, v82, v85 op_sel_hi:[0,1]
	v_pk_mul_f16 v86, v82, v86 op_sel_hi:[0,1]
	;; [unrolled: 1-line block ×6, first 2 shown]
	v_add_co_ci_u32_e32 v90, vcc_lo, 0, v65, vcc_lo
	global_load_b128 v[81:84], v[132:133], off offset:128
	v_pk_fma_f16 v32, v145, v32, v134 op_sel_hi:[0,1,1]
	v_pk_fma_f16 v38, v145, v38, v85 op_sel_hi:[0,1,1]
	;; [unrolled: 1-line block ×4, first 2 shown]
	global_load_b128 v[85:88], v[89:90], off
	v_pk_fma_f16 v34, v145, v34, v135 op_sel_hi:[0,1,1]
	global_load_b128 v[132:135], v[89:90], off offset:128
	v_add_co_u32 v42, vcc_lo, v42, s15
	v_add_co_ci_u32_e32 v43, vcc_lo, 0, v43, vcc_lo
	v_add_co_u32 v0, vcc_lo, v0, s18
	v_add_co_ci_u32_e32 v1, vcc_lo, s19, v1, vcc_lo
	;; [unrolled: 2-line block ×5, first 2 shown]
	v_pk_fma_f16 v33, v145, v33, v143 op_sel_hi:[0,1,1]
	v_add_co_u32 v50, vcc_lo, v50, s10
	v_pk_fma_f16 v31, v145, v31, v144 op_sel_hi:[0,1,1]
	v_pk_fma_f16 v2, v145, v2, v91 op_sel_hi:[0,1,1]
	v_add_co_ci_u32_e32 v51, vcc_lo, 0, v51, vcc_lo
	v_add_co_u32 v52, vcc_lo, v52, s10
	v_add_co_ci_u32_e32 v53, vcc_lo, 0, v53, vcc_lo
	v_add_co_u32 v54, vcc_lo, v54, s10
	;; [unrolled: 2-line block ×11, first 2 shown]
	v_add_co_ci_u32_e32 v73, vcc_lo, 0, v73, vcc_lo
	s_waitcnt vmcnt(13) lgkmcnt(6)
	v_pk_fma_f16 v32, v136, v77, v32 op_sel_hi:[0,1,1]
	v_pk_fma_f16 v38, v136, v78, v38 op_sel_hi:[0,1,1]
	v_pk_fma_f16 v36, v136, v79, v36 op_sel_hi:[0,1,1]
	v_pk_fma_f16 v35, v136, v80, v35 op_sel_hi:[0,1,1]
	s_waitcnt vmcnt(12)
	v_pk_fma_f16 v34, v136, v92, v34 op_sel_hi:[0,1,1]
	v_pk_fma_f16 v33, v136, v93, v33 op_sel_hi:[0,1,1]
	v_pk_fma_f16 v31, v136, v94, v31 op_sel_hi:[0,1,1]
	v_pk_fma_f16 v2, v136, v95, v2 op_sel_hi:[0,1,1]
	s_waitcnt vmcnt(11) lgkmcnt(5)
	v_pk_fma_f16 v32, v137, v96, v32 op_sel_hi:[0,1,1]
	v_pk_fma_f16 v38, v137, v97, v38 op_sel_hi:[0,1,1]
	v_pk_fma_f16 v36, v137, v98, v36 op_sel_hi:[0,1,1]
	v_pk_fma_f16 v35, v137, v99, v35 op_sel_hi:[0,1,1]
	s_waitcnt vmcnt(10)
	v_pk_fma_f16 v34, v137, v100, v34 op_sel_hi:[0,1,1]
	v_pk_fma_f16 v33, v137, v101, v33 op_sel_hi:[0,1,1]
	v_pk_fma_f16 v31, v137, v102, v31 op_sel_hi:[0,1,1]
	v_pk_fma_f16 v2, v137, v103, v2 op_sel_hi:[0,1,1]
	;; [unrolled: 10-line block ×7, first 2 shown]
	s_cbranch_scc1 .LBB18_57
; %bb.55:                               ;   in Loop: Header=BB18_6 Depth=1
	v_mov_b32_e32 v75, v76
	s_branch .LBB18_6
.LBB18_56:
	v_dual_mov_b32 v76, 0xfeffffff :: v_dual_mov_b32 v35, 0
	v_dual_mov_b32 v26, 0 :: v_dual_mov_b32 v33, 0
	;; [unrolled: 1-line block ×3, first 2 shown]
	v_mov_b32_e32 v36, 0
	v_mov_b32_e32 v34, 0
	s_waitcnt vmcnt(1)
	v_mov_b32_e32 v2, 0
.LBB18_57:
	v_or_b32_e32 v0, s14, v22
	s_cmp_lg_u64 s[24:25], 0
	s_cselect_b32 s2, -1, 0
	s_delay_alu instid0(VALU_DEP_1) | instskip(SKIP_1) | instid1(SALU_CYCLE_1)
	v_cmp_eq_u32_e32 vcc_lo, 0, v0
	s_and_b32 s3, vcc_lo, s2
	s_and_saveexec_b32 s2, s3
	s_cbranch_execz .LBB18_59
; %bb.58:
	s_ashr_i32 s41, s40, 31
	v_max_f32_e32 v0, v76, v76
	s_lshl_b64 s[4:5], s[40:41], 2
	s_delay_alu instid0(SALU_CYCLE_1) | instskip(SKIP_4) | instid1(VALU_DEP_1)
	s_add_u32 s4, s24, s4
	s_addc_u32 s5, s25, s5
	s_load_b32 s3, s[4:5], 0x0
	s_waitcnt lgkmcnt(0)
	v_max_f32_e64 v1, s3, s3
	v_max_f32_e32 v0, v1, v0
	s_delay_alu instid0(VALU_DEP_1) | instskip(SKIP_1) | instid1(VALU_DEP_1)
	v_sub_f32_e32 v3, s3, v0
	s_waitcnt vmcnt(0)
	v_mul_f32_e32 v5, 0x3fb8aa3b, v3
	s_delay_alu instid0(VALU_DEP_1) | instskip(SKIP_2) | instid1(VALU_DEP_3)
	v_fma_f32 v8, 0x3fb8aa3b, v3, -v5
	v_sub_f32_e32 v1, v76, v0
	v_rndne_f32_e32 v9, v5
	v_fmac_f32_e32 v8, 0x32a5705f, v3
	s_delay_alu instid0(VALU_DEP_3) | instskip(SKIP_1) | instid1(VALU_DEP_4)
	v_mul_f32_e32 v4, 0x3fb8aa3b, v1
	v_cmp_ngt_f32_e32 vcc_lo, 0xc2ce8ed0, v1
	v_sub_f32_e32 v5, v5, v9
	s_delay_alu instid0(VALU_DEP_3) | instskip(SKIP_1) | instid1(VALU_DEP_2)
	v_fma_f32 v6, 0x3fb8aa3b, v1, -v4
	v_rndne_f32_e32 v7, v4
	v_dual_add_f32 v5, v5, v8 :: v_dual_fmac_f32 v6, 0x32a5705f, v1
	s_delay_alu instid0(VALU_DEP_2) | instskip(NEXT) | instid1(VALU_DEP_2)
	v_sub_f32_e32 v4, v4, v7
	v_exp_f32_e32 v5, v5
	s_delay_alu instid0(VALU_DEP_1) | instskip(SKIP_2) | instid1(VALU_DEP_3)
	v_add_f32_e32 v4, v4, v6
	v_cvt_i32_f32_e32 v6, v7
	v_cvt_i32_f32_e32 v7, v9
	v_exp_f32_e32 v4, v4
	s_waitcnt_depctr 0xfff
	v_ldexp_f32 v5, v5, v7
	v_ldexp_f32 v4, v4, v6
	s_delay_alu instid0(VALU_DEP_1) | instskip(SKIP_1) | instid1(VALU_DEP_4)
	v_cndmask_b32_e32 v4, 0, v4, vcc_lo
	v_cmp_ngt_f32_e32 vcc_lo, 0xc2ce8ed0, v3
	v_cndmask_b32_e32 v5, 0, v5, vcc_lo
	v_cmp_nlt_f32_e32 vcc_lo, 0x42b17218, v1
	s_delay_alu instid0(VALU_DEP_4) | instskip(SKIP_1) | instid1(VALU_DEP_4)
	v_dual_mov_b32 v76, v0 :: v_dual_cndmask_b32 v1, 0x7f800000, v4
	v_cmp_nlt_f32_e32 vcc_lo, 0x42b17218, v3
	v_cndmask_b32_e32 v3, 0x7f800000, v5, vcc_lo
	v_cmp_eq_u32_e32 vcc_lo, 0, v21
	s_delay_alu instid0(VALU_DEP_2) | instskip(NEXT) | instid1(VALU_DEP_1)
	v_cndmask_b32_e32 v3, 0, v3, vcc_lo
	v_fmac_f32_e32 v3, v26, v1
	s_delay_alu instid0(VALU_DEP_1) | instskip(SKIP_1) | instid1(VALU_DEP_1)
	v_mov_b32_e32 v26, v3
	v_cvt_f16_f32_e32 v4, v1
	v_pk_mul_f16 v32, v4, v32 op_sel_hi:[0,1]
	v_pk_mul_f16 v38, v4, v38 op_sel_hi:[0,1]
	v_pk_mul_f16 v36, v4, v36 op_sel_hi:[0,1]
	v_pk_mul_f16 v35, v4, v35 op_sel_hi:[0,1]
	v_pk_mul_f16 v34, v4, v34 op_sel_hi:[0,1]
	v_pk_mul_f16 v33, v4, v33 op_sel_hi:[0,1]
	v_pk_mul_f16 v31, v4, v31 op_sel_hi:[0,1]
	v_pk_mul_f16 v2, v4, v2 op_sel_hi:[0,1]
.LBB18_59:
	s_or_b32 exec_lo, exec_lo, s2
	s_delay_alu instid0(SALU_CYCLE_1)
	s_mov_b32 s2, exec_lo
	v_cmpx_eq_u32_e32 0, v22
	s_cbranch_execz .LBB18_61
; %bb.60:
	v_dual_mov_b32 v0, 0xfeffffff :: v_dual_mov_b32 v1, 0
	v_add_nc_u32_e32 v3, 0x1000, v19
	ds_store_2addr_b32 v3, v0, v1 offset1:32
.LBB18_61:
	s_or_b32 exec_lo, exec_lo, s2
	v_cmp_eq_u32_e32 vcc_lo, 0, v21
	s_waitcnt vmcnt(0)
	v_lshlrev_b32_e32 v7, 2, v22
	s_waitcnt lgkmcnt(0)
	s_barrier
	buffer_gl0_inv
	s_and_saveexec_b32 s2, vcc_lo
	s_cbranch_execz .LBB18_63
; %bb.62:
	ds_store_b32 v7, v76 offset:4096
.LBB18_63:
	s_or_b32 exec_lo, exec_lo, s2
	s_waitcnt lgkmcnt(0)
	s_barrier
	buffer_gl0_inv
	ds_load_b32 v0, v19 offset:4096
	v_xor_b32_e32 v1, 16, v23
	v_xor_b32_e32 v3, 8, v23
	;; [unrolled: 1-line block ×3, first 2 shown]
	s_delay_alu instid0(VALU_DEP_3) | instskip(NEXT) | instid1(VALU_DEP_1)
	v_cmp_gt_i32_e64 s2, 32, v1
	v_cndmask_b32_e64 v1, v23, v1, s2
	s_delay_alu instid0(VALU_DEP_4) | instskip(NEXT) | instid1(VALU_DEP_2)
	v_cmp_gt_i32_e64 s2, 32, v3
	v_lshlrev_b32_e32 v4, 2, v1
	s_delay_alu instid0(VALU_DEP_2)
	v_cndmask_b32_e64 v3, v23, v3, s2
	s_waitcnt lgkmcnt(0)
	ds_bpermute_b32 v1, v4, v0
	s_waitcnt lgkmcnt(0)
	v_dual_max_f32 v0, v0, v0 :: v_dual_max_f32 v1, v1, v1
	v_lshlrev_b32_e32 v5, 2, v3
	v_xor_b32_e32 v3, 4, v23
	s_delay_alu instid0(VALU_DEP_3) | instskip(NEXT) | instid1(VALU_DEP_2)
	v_max_f32_e32 v0, v0, v1
	v_cmp_gt_i32_e64 s2, 32, v3
	ds_bpermute_b32 v1, v5, v0
	v_cndmask_b32_e64 v3, v23, v3, s2
	s_delay_alu instid0(VALU_DEP_1) | instskip(SKIP_1) | instid1(VALU_DEP_1)
	v_lshlrev_b32_e32 v6, 2, v3
	v_xor_b32_e32 v3, 2, v23
	v_cmp_gt_i32_e64 s2, 32, v3
	s_delay_alu instid0(VALU_DEP_1) | instskip(SKIP_3) | instid1(VALU_DEP_3)
	v_cndmask_b32_e64 v3, v23, v3, s2
	v_cmp_gt_i32_e64 s2, 32, v8
	s_waitcnt lgkmcnt(0)
	v_max_f32_e32 v1, v1, v1
	v_lshlrev_b32_e32 v3, 2, v3
	s_delay_alu instid0(VALU_DEP_3) | instskip(NEXT) | instid1(VALU_DEP_3)
	v_cndmask_b32_e64 v8, v23, v8, s2
	v_max_f32_e32 v0, v0, v1
	ds_bpermute_b32 v1, v6, v0
	s_waitcnt lgkmcnt(0)
	v_max_f32_e32 v1, v1, v1
	s_delay_alu instid0(VALU_DEP_1) | instskip(SKIP_3) | instid1(VALU_DEP_1)
	v_max_f32_e32 v0, v0, v1
	ds_bpermute_b32 v1, v3, v0
	s_waitcnt lgkmcnt(0)
	v_max_f32_e32 v9, v1, v1
	v_dual_max_f32 v0, v0, v9 :: v_dual_lshlrev_b32 v1, 2, v8
	ds_bpermute_b32 v8, v1, v0
	s_waitcnt lgkmcnt(0)
	v_max_f32_e32 v8, v8, v8
	s_delay_alu instid0(VALU_DEP_1) | instskip(NEXT) | instid1(VALU_DEP_1)
	v_max_f32_e32 v0, v0, v8
	v_sub_f32_e32 v8, v76, v0
	s_delay_alu instid0(VALU_DEP_1) | instskip(NEXT) | instid1(VALU_DEP_1)
	v_mul_f32_e32 v9, 0x3fb8aa3b, v8
	v_fma_f32 v10, 0x3fb8aa3b, v8, -v9
	v_rndne_f32_e32 v11, v9
	s_delay_alu instid0(VALU_DEP_1) | instskip(NEXT) | instid1(VALU_DEP_1)
	v_dual_fmamk_f32 v10, v8, 0x32a5705f, v10 :: v_dual_sub_f32 v9, v9, v11
	v_add_f32_e32 v9, v9, v10
	v_cvt_i32_f32_e32 v10, v11
	v_cmp_ngt_f32_e64 s2, 0xc2ce8ed0, v8
	s_delay_alu instid0(VALU_DEP_3) | instskip(SKIP_2) | instid1(VALU_DEP_1)
	v_exp_f32_e32 v9, v9
	s_waitcnt_depctr 0xfff
	v_ldexp_f32 v9, v9, v10
	v_cndmask_b32_e64 v9, 0, v9, s2
	v_cmp_nlt_f32_e64 s2, 0x42b17218, v8
	s_delay_alu instid0(VALU_DEP_1) | instskip(NEXT) | instid1(VALU_DEP_1)
	v_cndmask_b32_e64 v9, 0x7f800000, v9, s2
	v_mul_f32_e32 v8, v26, v9
	v_cvt_f16_f32_e32 v14, v9
	ds_bpermute_b32 v8, v4, v8
	v_pk_mul_f16 v11, v14, v38 op_sel_hi:[0,1]
	v_pk_mul_f16 v12, v14, v36 op_sel_hi:[0,1]
	;; [unrolled: 1-line block ×4, first 2 shown]
	s_waitcnt lgkmcnt(0)
	v_fmac_f32_e32 v8, v26, v9
	ds_bpermute_b32 v10, v5, v8
	s_waitcnt lgkmcnt(0)
	v_add_f32_e32 v8, v8, v10
	ds_bpermute_b32 v10, v6, v8
	s_waitcnt lgkmcnt(0)
	v_add_f32_e32 v8, v8, v10
	;; [unrolled: 3-line block ×3, first 2 shown]
	v_lshlrev_b32_e32 v10, 5, v21
	v_pk_mul_f16 v21, v14, v34 op_sel_hi:[0,1]
	ds_bpermute_b32 v9, v1, v8
	v_and_b32_e32 v13, 0xf00, v10
	v_pk_mul_f16 v10, v14, v32 op_sel_hi:[0,1]
	s_delay_alu instid0(VALU_DEP_2) | instskip(SKIP_2) | instid1(VALU_DEP_3)
	v_lshl_add_u32 v15, v22, 10, v13
	v_pk_mul_f16 v13, v14, v35 op_sel_hi:[0,1]
	v_pk_mul_f16 v22, v14, v33 op_sel_hi:[0,1]
	v_lshl_or_b32 v15, v20, 2, v15
	ds_store_b128 v15, v[10:13]
	ds_store_b128 v15, v[21:24] offset:128
	s_and_saveexec_b32 s2, vcc_lo
	s_cbranch_execz .LBB18_65
; %bb.64:
	s_waitcnt lgkmcnt(2)
	v_add_f32_e32 v2, v8, v9
	ds_store_b32 v7, v2 offset:4224
.LBB18_65:
	s_or_b32 exec_lo, exec_lo, s2
	s_waitcnt lgkmcnt(0)
	s_barrier
	buffer_gl0_inv
	ds_load_b32 v2, v19 offset:4224
	ds_load_u16 v7, v18
	ds_load_u16 v8, v18 offset:256
	ds_load_u16 v9, v18 offset:512
	;; [unrolled: 1-line block ×6, first 2 shown]
	s_mov_b32 s3, 0
	s_waitcnt lgkmcnt(7)
	ds_bpermute_b32 v4, v4, v2
	s_waitcnt lgkmcnt(0)
	v_add_f32_e32 v2, v2, v4
	ds_bpermute_b32 v4, v5, v2
	v_cvt_f32_f16_e32 v5, v7
	v_cvt_f32_f16_e32 v7, v8
	;; [unrolled: 1-line block ×3, first 2 shown]
	s_delay_alu instid0(VALU_DEP_3) | instskip(NEXT) | instid1(VALU_DEP_1)
	v_add_f32_e32 v5, 0, v5
	v_add_f32_e32 v5, v5, v7
	v_cvt_f32_f16_e32 v7, v10
	v_cvt_f32_f16_e32 v10, v13
	s_waitcnt lgkmcnt(0)
	v_add_f32_e32 v2, v2, v4
	v_cvt_f32_f16_e32 v4, v9
	v_cvt_f32_f16_e32 v9, v12
	ds_bpermute_b32 v6, v6, v2
	v_add_f32_e32 v4, v5, v4
	ds_load_u16 v5, v18 offset:1792
	s_waitcnt lgkmcnt(1)
	v_add_f32_e32 v2, v2, v6
	ds_bpermute_b32 v3, v3, v2
	s_waitcnt lgkmcnt(0)
	v_add_f32_e32 v2, v2, v3
	ds_bpermute_b32 v1, v1, v2
	v_add_f32_e32 v4, v4, v7
	ds_load_u16 v7, v18 offset:2048
	s_waitcnt lgkmcnt(1)
	v_dual_add_f32 v1, v2, v1 :: v_dual_add_f32 v4, v4, v8
	ds_load_u16 v8, v18 offset:2304
	v_cvt_f32_f16_e32 v5, v5
	s_waitcnt lgkmcnt(1)
	v_cvt_f32_f16_e32 v7, v7
	v_add_f32_e32 v4, v4, v9
	ds_load_u16 v6, v18 offset:2560
	ds_load_u16 v9, v18 offset:2816
	;; [unrolled: 1-line block ×5, first 2 shown]
	s_load_b32 s1, s[0:1], 0xd4
	s_mul_i32 s0, s12, s34
	v_add_f32_e32 v4, v4, v10
	s_delay_alu instid0(VALU_DEP_1) | instskip(NEXT) | instid1(VALU_DEP_1)
	v_add_f32_e32 v4, v4, v5
	v_add_f32_e32 v4, v4, v7
	s_waitcnt lgkmcnt(0)
	v_cvt_f32_f16_e32 v5, v8
	v_cvt_f32_f16_e32 v6, v6
	v_cvt_f32_f16_e32 v7, v9
	v_cvt_f32_f16_e32 v3, v11
	s_delay_alu instid0(VALU_DEP_4) | instskip(SKIP_4) | instid1(VALU_DEP_2)
	v_add_f32_e32 v4, v4, v5
	ds_load_u16 v5, v18 offset:3840
	s_cmp_eq_u32 s1, 1
	v_add_f32_e32 v4, v4, v6
	v_cvt_f32_f16_e32 v6, v12
	v_add_f32_e32 v4, v4, v7
	s_delay_alu instid0(VALU_DEP_1) | instskip(SKIP_1) | instid1(VALU_DEP_2)
	v_add_f32_e32 v3, v4, v3
	v_cvt_f32_f16_e32 v4, v13
	v_add_f32_e32 v3, v3, v6
	s_waitcnt lgkmcnt(0)
	v_cvt_f32_f16_e32 v5, v5
	s_delay_alu instid0(VALU_DEP_2) | instskip(NEXT) | instid1(VALU_DEP_1)
	v_add_f32_e32 v3, v3, v4
	v_add_f32_e32 v6, v3, v5
	s_delay_alu instid0(VALU_DEP_1) | instskip(NEXT) | instid1(VALU_DEP_1)
	v_div_scale_f32 v2, null, v1, v1, v6
	v_rcp_f32_e32 v3, v2
	s_waitcnt_depctr 0xfff
	v_fma_f32 v4, -v2, v3, 1.0
	s_delay_alu instid0(VALU_DEP_1) | instskip(SKIP_1) | instid1(VALU_DEP_1)
	v_fmac_f32_e32 v3, v4, v3
	v_div_scale_f32 v5, vcc_lo, v6, v1, v6
	v_mul_f32_e32 v4, v5, v3
	s_delay_alu instid0(VALU_DEP_1) | instskip(NEXT) | instid1(VALU_DEP_1)
	v_fma_f32 v7, -v2, v4, v5
	v_fmac_f32_e32 v4, v7, v3
	s_delay_alu instid0(VALU_DEP_1) | instskip(NEXT) | instid1(VALU_DEP_1)
	v_fma_f32 v2, -v2, v4, v5
	v_div_fmas_f32 v2, v2, v3, v4
	s_cselect_b32 vcc_lo, -1, 0
	s_add_i32 s0, s0, s13
	v_mov_b32_e32 v3, 0
	s_mul_i32 s0, s0, s35
	v_div_fixup_f32 v7, v2, v1, v6
	s_add_i32 s0, s0, s40
	s_delay_alu instid0(SALU_CYCLE_1) | instskip(NEXT) | instid1(SALU_CYCLE_1)
	s_mul_i32 s0, s1, s0
	s_add_i32 s2, s0, s14
	v_cmp_eq_u32_e64 s0, 0, v17
	v_lshl_or_b32 v2, s2, 7, v17
	s_cmp_lg_u32 s1, 1
	s_cselect_b32 s1, -1, 0
	s_delay_alu instid0(VALU_DEP_1) | instskip(SKIP_2) | instid1(VALU_DEP_2)
	v_lshlrev_b64 v[4:5], 2, v[2:3]
	v_cndmask_b32_e32 v2, v6, v7, vcc_lo
	s_and_b32 s0, s0, s1
	v_add_co_u32 v4, vcc_lo, s28, v4
	s_delay_alu instid0(VALU_DEP_3)
	v_add_co_ci_u32_e32 v5, vcc_lo, s29, v5, vcc_lo
	global_store_b32 v[4:5], v2, off
	s_and_saveexec_b32 s1, s0
	s_cbranch_execz .LBB18_67
; %bb.66:
	s_lshl_b64 s[0:1], s[2:3], 3
	s_delay_alu instid0(SALU_CYCLE_1)
	s_add_u32 s0, s30, s0
	s_addc_u32 s1, s31, s1
	global_store_b64 v3, v[0:1], s[0:1]
.LBB18_67:
	s_nop 0
	s_sendmsg sendmsg(MSG_DEALLOC_VGPRS)
	s_endpgm
	.section	.rodata,"a",@progbits
	.p2align	6, 0x0
	.amdhsa_kernel _ZL18flash_attn_ext_vecILi128ELi1EL9ggml_type30ELS0_1ELb1EEvPKcS2_S2_S2_S2_PKiPfP15HIP_vector_typeIfLj2EEffffjfiS6_IjLj3EEiiiiiiiiiiiliiliiiiil
		.amdhsa_group_segment_fixed_size 4352
		.amdhsa_private_segment_fixed_size 0
		.amdhsa_kernarg_size 464
		.amdhsa_user_sgpr_count 13
		.amdhsa_user_sgpr_dispatch_ptr 0
		.amdhsa_user_sgpr_queue_ptr 0
		.amdhsa_user_sgpr_kernarg_segment_ptr 1
		.amdhsa_user_sgpr_dispatch_id 0
		.amdhsa_user_sgpr_private_segment_size 0
		.amdhsa_wavefront_size32 1
		.amdhsa_uses_dynamic_stack 0
		.amdhsa_enable_private_segment 0
		.amdhsa_system_sgpr_workgroup_id_x 1
		.amdhsa_system_sgpr_workgroup_id_y 1
		.amdhsa_system_sgpr_workgroup_id_z 1
		.amdhsa_system_sgpr_workgroup_info 0
		.amdhsa_system_vgpr_workitem_id 1
		.amdhsa_next_free_vgpr 146
		.amdhsa_next_free_sgpr 55
		.amdhsa_reserve_vcc 1
		.amdhsa_float_round_mode_32 0
		.amdhsa_float_round_mode_16_64 0
		.amdhsa_float_denorm_mode_32 3
		.amdhsa_float_denorm_mode_16_64 3
		.amdhsa_dx10_clamp 1
		.amdhsa_ieee_mode 1
		.amdhsa_fp16_overflow 0
		.amdhsa_workgroup_processor_mode 1
		.amdhsa_memory_ordered 1
		.amdhsa_forward_progress 0
		.amdhsa_shared_vgpr_count 0
		.amdhsa_exception_fp_ieee_invalid_op 0
		.amdhsa_exception_fp_denorm_src 0
		.amdhsa_exception_fp_ieee_div_zero 0
		.amdhsa_exception_fp_ieee_overflow 0
		.amdhsa_exception_fp_ieee_underflow 0
		.amdhsa_exception_fp_ieee_inexact 0
		.amdhsa_exception_int_div_zero 0
	.end_amdhsa_kernel
	.section	.text._ZL18flash_attn_ext_vecILi128ELi1EL9ggml_type30ELS0_1ELb1EEvPKcS2_S2_S2_S2_PKiPfP15HIP_vector_typeIfLj2EEffffjfiS6_IjLj3EEiiiiiiiiiiiliiliiiiil,"axG",@progbits,_ZL18flash_attn_ext_vecILi128ELi1EL9ggml_type30ELS0_1ELb1EEvPKcS2_S2_S2_S2_PKiPfP15HIP_vector_typeIfLj2EEffffjfiS6_IjLj3EEiiiiiiiiiiiliiliiiiil,comdat
.Lfunc_end18:
	.size	_ZL18flash_attn_ext_vecILi128ELi1EL9ggml_type30ELS0_1ELb1EEvPKcS2_S2_S2_S2_PKiPfP15HIP_vector_typeIfLj2EEffffjfiS6_IjLj3EEiiiiiiiiiiiliiliiiiil, .Lfunc_end18-_ZL18flash_attn_ext_vecILi128ELi1EL9ggml_type30ELS0_1ELb1EEvPKcS2_S2_S2_S2_PKiPfP15HIP_vector_typeIfLj2EEffffjfiS6_IjLj3EEiiiiiiiiiiiliiliiiiil
                                        ; -- End function
	.section	.AMDGPU.csdata,"",@progbits
; Kernel info:
; codeLenInByte = 11244
; NumSgprs: 57
; NumVgprs: 146
; ScratchSize: 0
; MemoryBound: 0
; FloatMode: 240
; IeeeMode: 1
; LDSByteSize: 4352 bytes/workgroup (compile time only)
; SGPRBlocks: 7
; VGPRBlocks: 18
; NumSGPRsForWavesPerEU: 57
; NumVGPRsForWavesPerEU: 146
; Occupancy: 9
; WaveLimiterHint : 1
; COMPUTE_PGM_RSRC2:SCRATCH_EN: 0
; COMPUTE_PGM_RSRC2:USER_SGPR: 13
; COMPUTE_PGM_RSRC2:TRAP_HANDLER: 0
; COMPUTE_PGM_RSRC2:TGID_X_EN: 1
; COMPUTE_PGM_RSRC2:TGID_Y_EN: 1
; COMPUTE_PGM_RSRC2:TGID_Z_EN: 1
; COMPUTE_PGM_RSRC2:TIDIG_COMP_CNT: 1
	.section	.text._ZL18flash_attn_ext_vecILi128ELi2EL9ggml_type30ELS0_1ELb0EEvPKcS2_S2_S2_S2_PKiPfP15HIP_vector_typeIfLj2EEffffjfiS6_IjLj3EEiiiiiiiiiiiliiliiiiil,"axG",@progbits,_ZL18flash_attn_ext_vecILi128ELi2EL9ggml_type30ELS0_1ELb0EEvPKcS2_S2_S2_S2_PKiPfP15HIP_vector_typeIfLj2EEffffjfiS6_IjLj3EEiiiiiiiiiiiliiliiiiil,comdat
	.globl	_ZL18flash_attn_ext_vecILi128ELi2EL9ggml_type30ELS0_1ELb0EEvPKcS2_S2_S2_S2_PKiPfP15HIP_vector_typeIfLj2EEffffjfiS6_IjLj3EEiiiiiiiiiiiliiliiiiil ; -- Begin function _ZL18flash_attn_ext_vecILi128ELi2EL9ggml_type30ELS0_1ELb0EEvPKcS2_S2_S2_S2_PKiPfP15HIP_vector_typeIfLj2EEffffjfiS6_IjLj3EEiiiiiiiiiiiliiliiiiil
	.p2align	8
	.type	_ZL18flash_attn_ext_vecILi128ELi2EL9ggml_type30ELS0_1ELb0EEvPKcS2_S2_S2_S2_PKiPfP15HIP_vector_typeIfLj2EEffffjfiS6_IjLj3EEiiiiiiiiiiiliiliiiiil,@function
_ZL18flash_attn_ext_vecILi128ELi2EL9ggml_type30ELS0_1ELb0EEvPKcS2_S2_S2_S2_PKiPfP15HIP_vector_typeIfLj2EEffffjfiS6_IjLj3EEiiiiiiiiiiiliiliiiiil: ; @_ZL18flash_attn_ext_vecILi128ELi2EL9ggml_type30ELS0_1ELb0EEvPKcS2_S2_S2_S2_PKiPfP15HIP_vector_typeIfLj2EEffffjfiS6_IjLj3EEiiiiiiiiiiiliiliiiiil
; %bb.0:
	s_clause 0x3
	s_load_b64 s[34:35], s[0:1], 0x64
	s_load_b64 s[40:41], s[0:1], 0x80
	;; [unrolled: 1-line block ×3, first 2 shown]
	s_load_b128 s[8:11], s[0:1], 0x40
	v_mov_b32_e32 v16, 1.0
	s_waitcnt lgkmcnt(0)
	v_cvt_f32_u32_e32 v1, s35
	s_sub_i32 s3, 0, s35
	s_delay_alu instid0(VALU_DEP_1) | instskip(SKIP_2) | instid1(VALU_DEP_1)
	v_rcp_iflag_f32_e32 v1, v1
	s_waitcnt_depctr 0xfff
	v_mul_f32_e32 v1, 0x4f7ffffe, v1
	v_cvt_u32_f32_e32 v1, v1
	s_delay_alu instid0(VALU_DEP_1) | instskip(NEXT) | instid1(VALU_DEP_1)
	v_readfirstlane_b32 s2, v1
	s_mul_i32 s3, s3, s2
	s_delay_alu instid0(SALU_CYCLE_1) | instskip(NEXT) | instid1(SALU_CYCLE_1)
	s_mul_hi_u32 s3, s2, s3
	s_add_i32 s2, s2, s3
	s_delay_alu instid0(SALU_CYCLE_1) | instskip(NEXT) | instid1(SALU_CYCLE_1)
	s_mul_hi_u32 s2, s15, s2
	s_mul_i32 s3, s2, s35
	s_add_i32 s4, s2, 1
	s_sub_i32 s3, s15, s3
	s_delay_alu instid0(SALU_CYCLE_1)
	s_sub_i32 s5, s3, s35
	s_cmp_ge_u32 s3, s35
	s_cselect_b32 s2, s4, s2
	s_cselect_b32 s3, s5, s3
	s_add_i32 s4, s2, 1
	s_cmp_ge_u32 s3, s35
	s_cselect_b32 s33, s4, s2
	s_abs_i32 s2, s41
	s_abs_i32 s6, s35
	v_cvt_f32_u32_e32 v1, s2
	s_sub_i32 s4, 0, s2
	s_xor_b32 s5, s35, s41
	s_delay_alu instid0(SALU_CYCLE_1) | instskip(NEXT) | instid1(VALU_DEP_1)
	s_ashr_i32 s5, s5, 31
	v_rcp_iflag_f32_e32 v1, v1
	s_waitcnt_depctr 0xfff
	v_mul_f32_e32 v1, 0x4f7ffffe, v1
	s_delay_alu instid0(VALU_DEP_1) | instskip(NEXT) | instid1(VALU_DEP_1)
	v_cvt_u32_f32_e32 v1, v1
	v_readfirstlane_b32 s3, v1
	s_delay_alu instid0(VALU_DEP_1) | instskip(NEXT) | instid1(SALU_CYCLE_1)
	s_mul_i32 s4, s4, s3
	s_mul_hi_u32 s4, s3, s4
	s_delay_alu instid0(SALU_CYCLE_1) | instskip(SKIP_4) | instid1(SALU_CYCLE_1)
	s_add_i32 s3, s3, s4
	s_mul_i32 s4, s33, s35
	s_mul_hi_u32 s3, s6, s3
	s_sub_i32 s12, s15, s4
	s_mul_i32 s7, s3, s2
	s_sub_i32 s4, s6, s7
	s_add_i32 s6, s3, 1
	s_sub_i32 s7, s4, s2
	s_cmp_ge_u32 s4, s2
	s_cselect_b32 s3, s6, s3
	s_cselect_b32 s4, s7, s4
	s_add_i32 s6, s3, 1
	s_cmp_ge_u32 s4, s2
	s_cselect_b32 s2, s6, s3
	s_abs_i32 s44, s42
	s_xor_b32 s2, s2, s5
	v_cvt_f32_u32_e32 v1, s44
	s_sub_i32 s36, s2, s5
	s_load_b32 s2, s[0:1], 0x50
	s_abs_i32 s46, s36
	v_cmp_le_f32_e64 s3, s9, 0
	v_cvt_f32_u32_e32 v2, s46
	v_rcp_iflag_f32_e32 v1, v1
	s_delay_alu instid0(VALU_DEP_2) | instskip(NEXT) | instid1(VALU_DEP_1)
	s_and_b32 vcc_lo, exec_lo, s3
	v_rcp_iflag_f32_e32 v2, v2
	s_waitcnt_depctr 0xfff
	v_dual_mul_f32 v1, 0x4f7ffffe, v1 :: v_dual_mul_f32 v2, 0x4f7ffffe, v2
	s_delay_alu instid0(VALU_DEP_1) | instskip(NEXT) | instid1(VALU_DEP_2)
	v_cvt_u32_f32_e32 v1, v1
	v_cvt_u32_f32_e32 v2, v2
	s_delay_alu instid0(VALU_DEP_2) | instskip(NEXT) | instid1(VALU_DEP_2)
	v_readfirstlane_b32 s9, v1
	v_readfirstlane_b32 s37, v2
	s_cbranch_vccnz .LBB19_2
; %bb.1:
	s_waitcnt lgkmcnt(0)
	s_sub_i32 s3, s12, s2
	s_add_i32 s4, s12, 1
	s_lshl_b32 s3, s3, 1
	v_mov_b32_e32 v1, s10
	s_or_b32 s3, s3, 1
	s_cmp_lt_u32 s12, s2
	s_cselect_b32 vcc_lo, -1, 0
	s_delay_alu instid0(VALU_DEP_1)
	v_cndmask_b32_e32 v3, s11, v1, vcc_lo
	s_and_b32 s2, vcc_lo, exec_lo
	s_cselect_b32 s2, s4, s3
	s_mov_b32 s3, 0x3e76c4e1
	v_cvt_f32_i32_e32 v1, s2
	v_cmp_neq_f32_e32 vcc_lo, 1.0, v3
	s_delay_alu instid0(VALU_DEP_2) | instskip(NEXT) | instid1(VALU_DEP_1)
	v_cndmask_b32_e32 v4, 1.0, v1, vcc_lo
	v_cmp_eq_f32_e32 vcc_lo, 0, v4
	v_cndmask_b32_e64 v5, |v3|, 1.0, vcc_lo
	s_delay_alu instid0(VALU_DEP_1) | instskip(NEXT) | instid1(VALU_DEP_1)
	v_frexp_mant_f32_e32 v1, v5
	v_cmp_gt_f32_e64 s2, 0x3f2aaaab, v1
	s_delay_alu instid0(VALU_DEP_1) | instskip(NEXT) | instid1(VALU_DEP_1)
	v_cndmask_b32_e64 v2, 1.0, 2.0, s2
	v_mul_f32_e32 v1, v1, v2
	s_delay_alu instid0(VALU_DEP_1) | instskip(SKIP_1) | instid1(VALU_DEP_2)
	v_add_f32_e32 v2, 1.0, v1
	v_add_f32_e32 v7, -1.0, v1
	v_rcp_f32_e32 v6, v2
	s_waitcnt_depctr 0xfff
	v_mul_f32_e32 v8, v7, v6
	s_delay_alu instid0(VALU_DEP_1) | instskip(NEXT) | instid1(VALU_DEP_1)
	v_dual_add_f32 v9, -1.0, v2 :: v_dual_mul_f32 v10, v2, v8
	v_sub_f32_e32 v1, v1, v9
	v_cndmask_b32_e64 v3, v3, 1.0, vcc_lo
	s_delay_alu instid0(VALU_DEP_3) | instskip(NEXT) | instid1(VALU_DEP_2)
	v_fma_f32 v2, v8, v2, -v10
	v_cmp_eq_f32_e64 s4, 0, v3
	s_delay_alu instid0(VALU_DEP_2) | instskip(NEXT) | instid1(VALU_DEP_1)
	v_fmac_f32_e32 v2, v8, v1
	v_add_f32_e32 v1, v10, v2
	s_delay_alu instid0(VALU_DEP_1) | instskip(NEXT) | instid1(VALU_DEP_1)
	v_dual_sub_f32 v10, v1, v10 :: v_dual_sub_f32 v9, v7, v1
	v_dual_sub_f32 v2, v10, v2 :: v_dual_sub_f32 v7, v7, v9
	s_delay_alu instid0(VALU_DEP_1) | instskip(NEXT) | instid1(VALU_DEP_1)
	v_sub_f32_e32 v1, v7, v1
	v_add_f32_e32 v1, v2, v1
	s_delay_alu instid0(VALU_DEP_1) | instskip(NEXT) | instid1(VALU_DEP_1)
	v_add_f32_e32 v1, v9, v1
	v_mul_f32_e32 v1, v6, v1
	s_delay_alu instid0(VALU_DEP_1) | instskip(NEXT) | instid1(VALU_DEP_1)
	v_add_f32_e32 v6, v8, v1
	v_sub_f32_e32 v2, v6, v8
	v_mul_f32_e32 v7, v6, v6
	s_delay_alu instid0(VALU_DEP_2) | instskip(NEXT) | instid1(VALU_DEP_2)
	v_sub_f32_e32 v8, v1, v2
	v_fma_f32 v9, v6, v6, -v7
	s_delay_alu instid0(VALU_DEP_2) | instskip(NEXT) | instid1(VALU_DEP_1)
	v_add_f32_e32 v1, v8, v8
	v_fmac_f32_e32 v9, v6, v1
	v_cvt_f64_f32_e32 v[1:2], v5
	s_delay_alu instid0(VALU_DEP_2) | instskip(NEXT) | instid1(VALU_DEP_1)
	v_add_f32_e32 v10, v7, v9
	v_fmaak_f32 v11, s3, v10, 0x3e91f4c4
	v_sub_f32_e32 v7, v10, v7
	v_mul_f32_e32 v14, v6, v10
	s_delay_alu instid0(VALU_DEP_3) | instskip(NEXT) | instid1(VALU_DEP_3)
	v_fmaak_f32 v11, v10, v11, 0x3ecccdef
	v_sub_f32_e32 v7, v9, v7
	s_delay_alu instid0(VALU_DEP_2) | instskip(NEXT) | instid1(VALU_DEP_1)
	v_mul_f32_e32 v12, v10, v11
	v_fma_f32 v9, v10, v11, -v12
	s_delay_alu instid0(VALU_DEP_1) | instskip(NEXT) | instid1(VALU_DEP_1)
	v_fmac_f32_e32 v9, v7, v11
	v_add_f32_e32 v11, v12, v9
	v_frexp_exp_i32_f64_e32 v1, v[1:2]
	s_delay_alu instid0(VALU_DEP_2) | instskip(NEXT) | instid1(VALU_DEP_1)
	v_sub_f32_e32 v12, v11, v12
	v_sub_f32_e32 v2, v9, v12
	v_fma_f32 v12, v10, v6, -v14
	s_delay_alu instid0(VALU_DEP_2) | instskip(NEXT) | instid1(VALU_DEP_2)
	v_add_f32_e32 v2, 0x31739010, v2
	v_dual_add_f32 v13, 0x3f2aaaaa, v11 :: v_dual_fmac_f32 v12, v10, v8
	v_ldexp_f32 v8, v8, 1
	s_delay_alu instid0(VALU_DEP_2) | instskip(NEXT) | instid1(VALU_DEP_1)
	v_dual_add_f32 v9, 0xbf2aaaaa, v13 :: v_dual_fmac_f32 v12, v7, v6
	v_sub_f32_e32 v9, v11, v9
	s_delay_alu instid0(VALU_DEP_1) | instskip(NEXT) | instid1(VALU_DEP_3)
	v_add_f32_e32 v2, v2, v9
	v_add_f32_e32 v9, v14, v12
	s_delay_alu instid0(VALU_DEP_2) | instskip(NEXT) | instid1(VALU_DEP_1)
	v_add_f32_e32 v7, v13, v2
	v_sub_f32_e32 v10, v13, v7
	s_delay_alu instid0(VALU_DEP_3) | instskip(SKIP_2) | instid1(VALU_DEP_4)
	v_mul_f32_e32 v11, v9, v7
	v_sub_f32_e32 v13, v9, v14
	v_subrev_co_ci_u32_e64 v1, s2, 0, v1, s2
	v_add_f32_e32 v2, v2, v10
	s_delay_alu instid0(VALU_DEP_4) | instskip(NEXT) | instid1(VALU_DEP_4)
	v_fma_f32 v10, v9, v7, -v11
	v_sub_f32_e32 v12, v12, v13
	s_delay_alu instid0(VALU_DEP_4) | instskip(NEXT) | instid1(VALU_DEP_3)
	v_cvt_f32_i32_e32 v1, v1
	v_fmac_f32_e32 v10, v9, v2
	v_ldexp_f32 v2, v6, 1
	s_delay_alu instid0(VALU_DEP_2) | instskip(NEXT) | instid1(VALU_DEP_1)
	v_fmac_f32_e32 v10, v12, v7
	v_add_f32_e32 v6, v11, v10
	s_delay_alu instid0(VALU_DEP_1) | instskip(NEXT) | instid1(VALU_DEP_1)
	v_add_f32_e32 v7, v2, v6
	v_dual_sub_f32 v2, v7, v2 :: v_dual_sub_f32 v9, v6, v11
	s_delay_alu instid0(VALU_DEP_1) | instskip(NEXT) | instid1(VALU_DEP_2)
	v_sub_f32_e32 v2, v6, v2
	v_sub_f32_e32 v9, v10, v9
	s_delay_alu instid0(VALU_DEP_1) | instskip(NEXT) | instid1(VALU_DEP_1)
	v_add_f32_e32 v6, v8, v9
	v_dual_mul_f32 v11, 0x3f317218, v1 :: v_dual_add_f32 v2, v6, v2
	s_delay_alu instid0(VALU_DEP_1) | instskip(NEXT) | instid1(VALU_DEP_2)
	v_fma_f32 v10, 0x3f317218, v1, -v11
	v_add_f32_e32 v8, v7, v2
	s_delay_alu instid0(VALU_DEP_1) | instskip(NEXT) | instid1(VALU_DEP_1)
	v_sub_f32_e32 v7, v8, v7
	v_dual_fmamk_f32 v1, v1, 0xb102e308, v10 :: v_dual_sub_f32 v2, v2, v7
	s_delay_alu instid0(VALU_DEP_1) | instskip(NEXT) | instid1(VALU_DEP_1)
	v_add_f32_e32 v6, v11, v1
	v_add_f32_e32 v9, v6, v8
	s_delay_alu instid0(VALU_DEP_1) | instskip(NEXT) | instid1(VALU_DEP_1)
	v_dual_sub_f32 v11, v6, v11 :: v_dual_sub_f32 v10, v9, v6
	v_sub_f32_e32 v12, v9, v10
	s_delay_alu instid0(VALU_DEP_2) | instskip(NEXT) | instid1(VALU_DEP_2)
	v_sub_f32_e32 v1, v1, v11
	v_dual_sub_f32 v7, v8, v10 :: v_dual_sub_f32 v6, v6, v12
	s_delay_alu instid0(VALU_DEP_2) | instskip(NEXT) | instid1(VALU_DEP_2)
	v_add_f32_e32 v8, v1, v2
	v_add_f32_e32 v6, v7, v6
	s_delay_alu instid0(VALU_DEP_1) | instskip(NEXT) | instid1(VALU_DEP_1)
	v_add_f32_e32 v6, v8, v6
	v_dual_sub_f32 v7, v8, v1 :: v_dual_add_f32 v10, v9, v6
	s_delay_alu instid0(VALU_DEP_1) | instskip(SKIP_1) | instid1(VALU_DEP_3)
	v_sub_f32_e32 v8, v8, v7
	v_sub_f32_e32 v2, v2, v7
	;; [unrolled: 1-line block ×3, first 2 shown]
	s_delay_alu instid0(VALU_DEP_3) | instskip(NEXT) | instid1(VALU_DEP_1)
	v_sub_f32_e32 v1, v1, v8
	v_add_f32_e32 v1, v2, v1
	s_delay_alu instid0(VALU_DEP_3) | instskip(NEXT) | instid1(VALU_DEP_1)
	v_sub_f32_e32 v2, v6, v7
	v_add_f32_e32 v1, v1, v2
	s_delay_alu instid0(VALU_DEP_1) | instskip(NEXT) | instid1(VALU_DEP_1)
	v_add_f32_e32 v2, v10, v1
	v_mul_f32_e32 v7, v4, v2
	v_sub_f32_e32 v6, v2, v10
	s_delay_alu instid0(VALU_DEP_2) | instskip(NEXT) | instid1(VALU_DEP_2)
	v_fma_f32 v2, v4, v2, -v7
	v_sub_f32_e32 v1, v1, v6
	v_cmp_class_f32_e64 s2, v7, 0x204
	s_delay_alu instid0(VALU_DEP_2) | instskip(NEXT) | instid1(VALU_DEP_1)
	v_fmac_f32_e32 v2, v4, v1
	v_add_f32_e32 v1, v7, v2
	s_delay_alu instid0(VALU_DEP_1) | instskip(NEXT) | instid1(VALU_DEP_1)
	v_cndmask_b32_e64 v6, v1, v7, s2
	v_cmp_eq_f32_e64 s2, 0x42b17218, v6
	s_delay_alu instid0(VALU_DEP_1) | instskip(SKIP_1) | instid1(VALU_DEP_2)
	v_cndmask_b32_e64 v8, 0, 0x37000000, s2
	v_cmp_neq_f32_e64 s2, 0x7f800000, |v6|
	v_sub_f32_e32 v9, v6, v8
	v_trunc_f32_e32 v6, v4
	s_delay_alu instid0(VALU_DEP_2) | instskip(NEXT) | instid1(VALU_DEP_1)
	v_mul_f32_e32 v10, 0x3fb8aa3b, v9
	v_fma_f32 v11, 0x3fb8aa3b, v9, -v10
	v_rndne_f32_e32 v12, v10
	s_delay_alu instid0(VALU_DEP_1) | instskip(NEXT) | instid1(VALU_DEP_1)
	v_dual_fmamk_f32 v11, v9, 0x32a5705f, v11 :: v_dual_sub_f32 v10, v10, v12
	v_add_f32_e32 v10, v10, v11
	v_sub_f32_e32 v1, v1, v7
	v_cvt_i32_f32_e32 v7, v12
	s_delay_alu instid0(VALU_DEP_3) | instskip(NEXT) | instid1(VALU_DEP_2)
	v_exp_f32_e32 v10, v10
	v_sub_f32_e32 v1, v2, v1
	s_delay_alu instid0(VALU_DEP_1)
	v_cndmask_b32_e64 v1, 0, v1, s2
	v_cmp_ngt_f32_e64 s2, 0xc2ce8ed0, v9
	s_waitcnt_depctr 0xfff
	v_ldexp_f32 v2, v10, v7
	v_mul_f32_e32 v7, 0.5, v4
	v_add_f32_e32 v1, v8, v1
	s_delay_alu instid0(VALU_DEP_3) | instskip(NEXT) | instid1(VALU_DEP_3)
	v_cndmask_b32_e64 v2, 0, v2, s2
	v_trunc_f32_e32 v10, v7
	v_cmp_nlt_f32_e64 s2, 0x42b17218, v9
	s_delay_alu instid0(VALU_DEP_2) | instskip(NEXT) | instid1(VALU_DEP_2)
	v_cmp_neq_f32_e64 s3, v10, v7
	v_cndmask_b32_e64 v2, 0x7f800000, v2, s2
	v_cmp_eq_f32_e64 s2, v6, v4
	s_delay_alu instid0(VALU_DEP_2) | instskip(NEXT) | instid1(VALU_DEP_2)
	v_fma_f32 v1, v2, v1, v2
	s_and_b32 vcc_lo, s2, s3
	v_cmp_class_f32_e64 s3, v2, 0x204
	v_cndmask_b32_e32 v6, 1.0, v3, vcc_lo
	s_delay_alu instid0(VALU_DEP_2) | instskip(SKIP_1) | instid1(VALU_DEP_2)
	v_cndmask_b32_e64 v1, v1, v2, s3
	v_cmp_gt_f32_e64 s3, 0, v4
	v_bfi_b32 v1, 0x7fffffff, v1, v6
	s_delay_alu instid0(VALU_DEP_2)
	s_xor_b32 s3, s3, s4
	v_cndmask_b32_e32 v6, 0, v3, vcc_lo
	v_cndmask_b32_e64 v2, 0x7f800000, 0, s3
	v_cmp_eq_f32_e32 vcc_lo, 0x7f800000, v5
	v_cndmask_b32_e64 v4, 0x7fc00000, v1, s2
	v_cmp_gt_f32_e64 s2, 0, v3
	s_delay_alu instid0(VALU_DEP_4) | instskip(SKIP_1) | instid1(VALU_DEP_2)
	v_bfi_b32 v2, 0x7fffffff, v2, v6
	s_or_b32 vcc_lo, vcc_lo, s4
	v_cndmask_b32_e64 v1, v1, v4, s2
	s_delay_alu instid0(VALU_DEP_1) | instskip(SKIP_1) | instid1(VALU_DEP_2)
	v_cndmask_b32_e32 v1, v1, v2, vcc_lo
	v_cmp_o_f32_e32 vcc_lo, v3, v3
	v_cndmask_b32_e32 v16, 0x7fc00000, v1, vcc_lo
.LBB19_2:
	s_clause 0x1
	s_load_b128 s[4:7], s[0:1], 0x70
	s_load_b512 s[16:31], s[0:1], 0x0
	v_dual_mov_b32 v1, 0 :: v_dual_and_b32 v8, 0x3ff, v0
	s_lshl_b32 s15, s13, 1
	s_mov_b32 s48, 0
	v_dual_mov_b32 v19, 0 :: v_dual_mov_b32 v20, 0
	s_delay_alu instid0(VALU_DEP_2)
	v_dual_mov_b32 v2, v1 :: v_dual_lshlrev_b32 v9, 2, v8
	s_mov_b32 s49, s48
	s_mov_b32 s50, s48
	;; [unrolled: 1-line block ×3, first 2 shown]
	v_dual_mov_b32 v4, s48 :: v_dual_mov_b32 v5, s49
	v_dual_mov_b32 v6, s50 :: v_dual_mov_b32 v7, s51
	v_dual_mov_b32 v3, v1 :: v_dual_and_b32 v14, 28, v9
	v_dual_mov_b32 v18, 0 :: v_dual_mov_b32 v21, 0
	s_waitcnt lgkmcnt(0)
	s_mul_i32 s2, s33, s6
	s_mul_i32 s3, s15, s4
	;; [unrolled: 1-line block ×3, first 2 shown]
	s_add_i32 s2, s2, s3
	s_clause 0x1
	scratch_store_b32 off, v1, off
	scratch_store_b128 off, v[4:7], off offset:4
	s_add_i32 s2, s2, s5
	s_clause 0x1
	scratch_store_b128 off, v[4:7], off offset:20
	scratch_store_b128 off, v[4:7], off offset:36
	s_ashr_i32 s3, s2, 31
	s_add_u32 s2, s16, s2
	s_addc_u32 s3, s17, s3
	s_cmp_lt_i32 s15, s34
	v_dual_mov_b32 v25, 0 :: v_dual_lshlrev_b32 v6, 3, v14
	s_cselect_b32 s45, -1, 0
	s_cmp_ge_i32 s15, s34
	v_dual_mov_b32 v24, 0 :: v_dual_mov_b32 v23, 0
	v_mov_b32_e32 v22, 0
	s_cselect_b32 s41, -1, 0
	scratch_store_b96 off, v[1:3], off offset:52
	s_and_b32 vcc_lo, exec_lo, s41
	s_cbranch_vccnz .LBB19_4
; %bb.3:
	s_clause 0x1
	global_load_b128 v[2:5], v6, s[2:3]
	global_load_b128 v[10:13], v6, s[2:3] offset:16
	s_waitcnt vmcnt(1)
	v_cvt_f16_f32_e32 v19, v2
	v_cvt_f16_f32_e32 v20, v3
	;; [unrolled: 1-line block ×4, first 2 shown]
	s_waitcnt vmcnt(0)
	v_cvt_f16_f32_e32 v24, v10
	v_cvt_f16_f32_e32 v25, v11
	;; [unrolled: 1-line block ×4, first 2 shown]
.LBB19_4:
	v_dual_mov_b32 v26, 0 :: v_dual_mov_b32 v27, 0
	v_dual_mov_b32 v28, 0 :: v_dual_mov_b32 v29, 0
	;; [unrolled: 1-line block ×3, first 2 shown]
	v_mov_b32_e32 v4, 0
	s_and_not1_b32 vcc_lo, exec_lo, s45
	s_cbranch_vccnz .LBB19_6
; %bb.5:
	s_clause 0x1
	global_load_b128 v[1:4], v6, s[2:3] offset:256
	global_load_b128 v[10:13], v6, s[2:3] offset:272
	s_waitcnt vmcnt(1)
	v_cvt_f16_f32_e32 v1, v1
	v_cvt_f16_f32_e32 v26, v2
	;; [unrolled: 1-line block ×4, first 2 shown]
	s_waitcnt vmcnt(0)
	v_cvt_f16_f32_e32 v29, v10
	v_cvt_f16_f32_e32 v30, v11
	;; [unrolled: 1-line block ×4, first 2 shown]
.LBB19_6:
	s_ashr_i32 s5, s4, 31
	s_add_u32 s2, s2, s4
	s_addc_u32 s3, s3, s5
	s_or_b32 s4, s15, 1
	v_dual_mov_b32 v31, 0 :: v_dual_mov_b32 v32, 0
	v_dual_mov_b32 v33, 0 :: v_dual_mov_b32 v34, 0
	;; [unrolled: 1-line block ×4, first 2 shown]
	v_mov_b32_e32 v39, 0
	s_cmp_lt_i32 s4, s34
	s_cselect_b32 s47, -1, 0
	s_cmp_ge_i32 s4, s34
	s_cbranch_scc1 .LBB19_8
; %bb.7:
	s_clause 0x1
	global_load_b128 v[10:13], v6, s[2:3]
	global_load_b128 v[36:39], v6, s[2:3] offset:16
	s_waitcnt vmcnt(1)
	v_cvt_f16_f32_e32 v32, v10
	v_cvt_f16_f32_e32 v33, v11
	;; [unrolled: 1-line block ×4, first 2 shown]
	s_waitcnt vmcnt(0)
	v_cvt_f16_f32_e32 v36, v36
	v_cvt_f16_f32_e32 v37, v37
	;; [unrolled: 1-line block ×4, first 2 shown]
.LBB19_8:
	v_cndmask_b32_e64 v13, 0, 1, s47
	v_dual_mov_b32 v40, 0 :: v_dual_mov_b32 v41, 0
	v_dual_mov_b32 v42, 0 :: v_dual_mov_b32 v43, 0
	;; [unrolled: 1-line block ×3, first 2 shown]
	v_mov_b32_e32 v46, 0
	s_and_not1_b32 vcc_lo, exec_lo, s47
	s_cbranch_vccnz .LBB19_10
; %bb.9:
	s_clause 0x1
	global_load_b128 v[40:43], v6, s[2:3] offset:256
	global_load_b128 v[44:47], v6, s[2:3] offset:272
	s_waitcnt vmcnt(1)
	v_cvt_f16_f32_e32 v31, v40
	v_cvt_f16_f32_e32 v40, v41
	;; [unrolled: 1-line block ×4, first 2 shown]
	s_waitcnt vmcnt(0)
	v_cvt_f16_f32_e32 v43, v44
	v_cvt_f16_f32_e32 v44, v45
	;; [unrolled: 1-line block ×4, first 2 shown]
.LBB19_10:
	s_cmp_eq_u64 s[26:27], 0
	s_mov_b32 s42, s40
	s_cbranch_scc1 .LBB19_12
; %bb.11:
	s_load_b32 s2, s[0:1], 0xd0
	s_mov_b32 s3, 0
	s_waitcnt lgkmcnt(0)
	s_mul_i32 s2, s2, s33
	s_delay_alu instid0(SALU_CYCLE_1) | instskip(NEXT) | instid1(SALU_CYCLE_1)
	s_add_i32 s2, s2, s13
	s_lshl_b64 s[2:3], s[2:3], 2
	s_delay_alu instid0(SALU_CYCLE_1)
	s_add_u32 s2, s26, s2
	s_addc_u32 s3, s27, s3
	s_load_b32 s42, s[2:3], 0x0
.LBB19_12:
	v_bfe_u32 v12, v0, 10, 10
	s_mov_b32 s17, 0
	s_mov_b32 s2, 0xfeffffff
	;; [unrolled: 1-line block ×4, first 2 shown]
	v_dual_mov_b32 v2, s16 :: v_dual_lshlrev_b32 v17, 5, v12
	v_dual_mov_b32 v7, s3 :: v_dual_mov_b32 v6, s2
	v_mbcnt_lo_u32_b32 v15, -1, 0
	s_delay_alu instid0(VALU_DEP_3) | instskip(SKIP_3) | instid1(VALU_DEP_1)
	v_dual_mov_b32 v3, s17 :: v_dual_add_nc_u32 v10, v17, v8
	s_lshl_b32 s10, s14, 7
	s_waitcnt lgkmcnt(0)
	s_cmp_ge_i32 s10, s42
	v_lshlrev_b32_e32 v11, 1, v10
	s_cbranch_scc1 .LBB19_48
; %bb.13:
	s_sub_i32 s2, 0, s46
	s_abs_i32 s4, s12
	s_mul_i32 s2, s2, s37
	s_ashr_i32 s5, s36, 31
	s_mul_hi_u32 s2, s37, s2
	s_sub_i32 s3, 0, s44
	s_add_i32 s37, s37, s2
	v_perm_b32 v2, v35, v34, 0x5040100
	s_mul_hi_u32 s2, s4, s37
	s_clause 0x1
	s_load_b64 s[26:27], s[0:1], 0x8c
	s_load_b128 s[36:39], s[0:1], 0x98
	v_cvt_f16_f32_e32 v7, s8
	s_mul_i32 s3, s3, s9
	s_abs_i32 s6, s33
	s_mul_hi_u32 s3, s9, s3
	v_perm_b32 v0, v33, v32, 0x5040100
	s_add_i32 s9, s9, s3
	v_perm_b32 v32, v42, v41, 0x5040100
	v_pk_mul_f16 v42, v7, v2 op_sel_hi:[0,1]
	v_perm_b32 v2, v20, v19, 0x5040100
	v_perm_b32 v18, v21, v18, 0x5040100
	;; [unrolled: 1-line block ×3, first 2 shown]
	s_mul_hi_u32 s7, s6, s9
	s_ashr_i32 s9, s33, 31
	v_perm_b32 v3, v37, v36, 0x5040100
	v_perm_b32 v6, v39, v38, 0x5040100
	;; [unrolled: 1-line block ×6, first 2 shown]
	s_waitcnt lgkmcnt(0)
	s_mul_i32 s8, s33, s37
	s_mul_hi_u32 s11, s33, s36
	v_perm_b32 v1, v26, v1, 0x5040100
	s_add_i32 s8, s11, s8
	s_mul_i32 s11, s9, s36
	v_perm_b32 v21, v28, v27, 0x5040100
	v_perm_b32 v22, v30, v29, 0x5040100
	;; [unrolled: 1-line block ×3, first 2 shown]
	v_pk_mul_f16 v5, v7, v2 op_sel_hi:[0,1]
	v_pk_mul_f16 v26, v7, v18 op_sel_hi:[0,1]
	;; [unrolled: 1-line block ×3, first 2 shown]
	v_xor_b32_e32 v18, 2, v15
	v_and_b32_e32 v2, 24, v15
	s_ashr_i32 s3, s12, 31
	s_add_i32 s8, s8, s11
	s_mul_i32 s11, s2, s46
	s_xor_b32 s3, s3, s5
	s_sub_i32 s11, s4, s11
	s_load_b64 s[4:5], s[0:1], 0xa8
	v_pk_mul_f16 v0, v7, v0 op_sel_hi:[0,1]
	v_pk_mul_f16 v3, v7, v3 op_sel_hi:[0,1]
	;; [unrolled: 1-line block ×7, first 2 shown]
	s_add_i32 s13, s2, 1
	s_sub_i32 s16, s11, s46
	v_pk_mul_f16 v30, v7, v20 op_sel_hi:[0,1]
	v_pk_mul_f16 v1, v7, v1 op_sel_hi:[0,1]
	;; [unrolled: 1-line block ×5, first 2 shown]
	v_xor_b32_e32 v7, 4, v15
	v_add_nc_u32_e32 v2, 8, v2
	v_lshrrev_b32_e32 v25, 16, v5
	v_cvt_f32_f16_e32 v24, v5
	v_lshrrev_b32_e32 v5, 16, v28
	s_cmp_ge_u32 s11, s46
	v_cmp_lt_i32_e32 vcc_lo, v7, v2
	s_cselect_b32 s2, s13, s2
	s_cselect_b32 s11, s16, s11
	s_add_i32 s13, s2, 1
	v_cvt_f32_f16_e32 v29, v5
	v_cndmask_b32_e32 v7, v15, v7, vcc_lo
	v_lshrrev_b32_e32 v5, 16, v1
	v_cvt_f32_f16_e32 v32, v1
	v_lshrrev_b32_e32 v1, 16, v36
	s_cmp_ge_u32 s11, s46
	v_xor_b32_e32 v20, 1, v15
	s_cselect_b32 s2, s13, s2
	v_cmp_lt_i32_e32 vcc_lo, v18, v2
	s_xor_b32 s2, s2, s3
	v_cvt_f32_f16_e32 v37, v1
	v_lshrrev_b32_e32 v1, 16, v0
	v_cvt_f32_f16_e32 v40, v0
	v_lshrrev_b32_e32 v0, 16, v3
	;; [unrolled: 2-line block ×3, first 2 shown]
	s_sub_i32 s11, s2, s3
	s_mul_i32 s3, s33, s36
	s_mul_i32 s2, s11, s27
	v_cndmask_b32_e32 v21, v15, v18, vcc_lo
	v_cmp_lt_i32_e32 vcc_lo, v20, v2
	v_cvt_f32_f16_e32 v33, v5
	v_lshrrev_b32_e32 v5, 16, v4
	v_cvt_f32_f16_e32 v59, v3
	v_xor_b32_e32 v3, 8, v15
	s_ashr_i32 s13, s2, 31
	s_add_u32 s3, s18, s3
	s_addc_u32 s8, s19, s8
	s_waitcnt lgkmcnt(0)
	s_mul_i32 s5, s33, s5
	s_mul_hi_u32 s18, s33, s4
	s_add_u32 s16, s3, s2
	s_addc_u32 s8, s8, s13
	s_add_i32 s5, s18, s5
	s_mul_i32 s13, s9, s4
	s_mul_i32 s11, s11, s39
	v_dual_mov_b32 v2, 0 :: v_dual_and_b32 v19, 0x78, v8
	v_cndmask_b32_e32 v22, v15, v20, vcc_lo
	v_cvt_f32_f16_e32 v39, v5
	v_xor_b32_e32 v5, 16, v15
	v_cmp_gt_i32_e32 vcc_lo, 32, v3
	s_mul_i32 s4, s33, s4
	s_add_i32 s5, s5, s13
	s_ashr_i32 s13, s11, 31
	s_clause 0x1
	s_load_b64 s[2:3], s[0:1], 0xc8
	s_load_b32 s36, s[0:1], 0xd4
	s_add_u32 s4, s20, s4
	s_addc_u32 s5, s21, s5
	s_mul_i32 s7, s7, s44
	s_add_u32 s4, s4, s11
	v_dual_cndmask_b32 v3, v15, v3 :: v_dual_lshlrev_b32 v20, 2, v21
	v_cmp_gt_i32_e32 vcc_lo, 32, v5
	v_add_nc_u32_e32 v18, v17, v19
	s_addc_u32 s5, s5, s13
	s_sub_i32 s6, s6, s7
	v_lshlrev_b32_e32 v19, 2, v7
	v_cndmask_b32_e32 v5, v15, v5, vcc_lo
	s_sub_i32 s7, s6, s44
	s_cmp_ge_u32 s6, s44
	v_dual_mov_b32 v94, 0xfeffffff :: v_dual_lshlrev_b32 v21, 2, v22
	v_mul_lo_u32 v22, v18, s26
	s_cselect_b32 s6, s7, s6
	v_lshrrev_b32_e32 v72, 3, v8
	s_sub_i32 s7, s6, s44
	s_cmp_ge_u32 s6, s44
	s_mov_b32 s11, s17
	s_cselect_b32 s6, s7, s6
	v_and_b32_e32 v71, 7, v8
	s_xor_b32 s6, s6, s9
	v_add_nc_u32_e32 v47, s26, v22
	s_sub_i32 s6, s6, s9
	v_cvt_f32_f16_e32 v41, v1
	s_waitcnt lgkmcnt(0)
	s_mul_i32 s3, s6, s3
	s_mul_hi_u32 s7, s6, s2
	s_ashr_i32 s9, s6, 31
	v_add_nc_u32_e32 v51, s26, v47
	s_add_i32 s3, s7, s3
	s_mul_i32 s9, s9, s2
	s_mul_i32 s6, s6, s2
	s_add_i32 s3, s3, s9
	s_add_u32 s2, s22, s6
	s_mul_i32 s6, s15, s43
	v_add_nc_u32_e32 v55, s26, v51
	s_addc_u32 s3, s23, s3
	s_ashr_i32 s7, s6, 31
	s_add_u32 s6, s2, s6
	s_addc_u32 s7, s3, s7
	s_lshl_b64 s[2:3], s[10:11], 1
	v_lshrrev_b32_e32 v1, 16, v6
	s_add_u32 s18, s6, s2
	s_mul_i32 s2, s10, s38
	v_cvt_f32_f16_e32 v46, v6
	v_dual_mov_b32 v95, 0xfeffffff :: v_dual_add_nc_u32 v58, s26, v55
	v_add_nc_u32_e32 v6, v17, v72
	s_addc_u32 s19, s7, s3
	s_add_u32 s11, s4, s2
	s_mul_i32 s2, s10, s26
	v_cvt_f32_f16_e32 v38, v4
	v_lshrrev_b32_e32 v4, 16, v42
	s_addc_u32 s13, s5, 0
	s_add_u32 s20, s16, s2
	s_addc_u32 s21, s8, 0
	v_cmp_eq_u32_e64 s2, 0, v71
	v_cmp_eq_u32_e64 s3, 1, v71
	v_add_nc_u32_e32 v61, s26, v58
	v_cmp_eq_u32_e64 s4, 2, v71
	v_cmp_eq_u32_e64 s5, 3, v71
	;; [unrolled: 1-line block ×6, first 2 shown]
	v_lshlrev_b32_e32 v71, 2, v3
	v_add_nc_u32_e32 v3, 4, v6
	v_cvt_f32_f16_e32 v43, v4
	v_or_b32_e32 v4, v17, v72
	v_add_nc_u32_e32 v64, s26, v61
	s_cmp_lg_u64 s[22:23], 0
	v_mul_lo_u32 v75, v3, s38
	v_add_nc_u32_e32 v3, 12, v6
	v_cvt_f32_f16_e32 v45, v0
	v_lshrrev_b32_e32 v0, 16, v49
	v_cvt_f32_f16_e32 v48, v1
	v_lshrrev_b32_e32 v1, 16, v52
	v_mul_lo_u32 v70, v4, s38
	v_lshlrev_b32_e32 v73, 1, v4
	v_or_b32_e32 v4, 16, v4
	s_cselect_b32 s27, -1, 0
	s_lshl_b32 s16, s36, 7
	v_add_nc_u32_e32 v67, s26, v64
	s_mul_i32 s22, s16, s26
	v_add_nc_u32_e32 v76, 8, v6
	v_lshlrev_b32_e32 v72, 2, v5
	v_add_nc_u32_e32 v5, 20, v6
	v_add_nc_u32_e32 v80, 24, v6
	;; [unrolled: 1-line block ×3, first 2 shown]
	v_mul_lo_u32 v77, v3, s38
	s_ashr_i32 s23, s40, 31
	v_add_co_u32 v3, s26, v18, s40
	v_cvt_f32_f16_e32 v50, v0
	v_cvt_f32_f16_e32 v53, v1
	v_lshrrev_b32_e32 v1, 16, v54
	v_add_nc_u32_e32 v0, s40, v18
	v_mul_lo_u32 v78, v4, s38
	v_add_co_ci_u32_e64 v4, null, 0, s23, s26
	v_lshlrev_b32_e32 v7, 3, v8
	v_mul_lo_u32 v76, v76, s38
	v_mul_lo_u32 v79, v5, s38
	;; [unrolled: 1-line block ×4, first 2 shown]
	v_cvt_f32_f16_e32 v56, v1
	v_lshlrev_b64 v[4:5], 1, v[3:4]
	v_mov_b32_e32 v3, 0
	v_ashrrev_i32_e32 v1, 31, v0
	v_and_b32_e32 v7, 56, v7
	v_lshrrev_b32_e32 v27, 16, v26
	v_lshrrev_b32_e32 v31, 16, v30
	;; [unrolled: 1-line block ×3, first 2 shown]
	v_lshlrev_b64 v[0:1], 1, v[0:1]
	v_ashrrev_i32_e32 v23, 31, v22
	v_cvt_f32_f16_e32 v25, v25
	v_cvt_f32_f16_e32 v26, v26
	;; [unrolled: 1-line block ×14, first 2 shown]
	v_ashrrev_i32_e32 v60, 31, v47
	v_ashrrev_i32_e32 v62, 31, v51
	;; [unrolled: 1-line block ×8, first 2 shown]
	v_lshl_add_u32 v82, v6, 1, 0x100
	v_ashrrev_i32_e32 v83, 31, v75
	v_ashrrev_i32_e32 v84, 31, v76
	;; [unrolled: 1-line block ×7, first 2 shown]
	v_lshlrev_b32_e32 v90, 2, v14
	v_lshlrev_b32_e32 v91, 1, v7
	s_mul_i32 s23, s16, s38
	s_and_b32 s26, s27, s45
	s_and_b32 s27, s27, s47
                                        ; implicit-def: $vgpr92
                                        ; implicit-def: $vgpr93
.LBB19_14:                              ; =>This Inner Loop Header: Depth=1
	v_add_co_u32 v102, s36, s20, v90
	s_delay_alu instid0(VALU_DEP_1) | instskip(NEXT) | instid1(VALU_DEP_2)
	v_add_co_ci_u32_e64 v103, null, s21, 0, s36
	v_add_co_u32 v6, vcc_lo, v102, v22
	s_delay_alu instid0(VALU_DEP_2)
	v_add_co_ci_u32_e32 v7, vcc_lo, v103, v23, vcc_lo
	s_and_b32 vcc_lo, exec_lo, s26
	s_clause 0x1
	global_load_b128 v[98:101], v[6:7], off
	global_load_b128 v[110:113], v[6:7], off offset:128
	s_waitcnt vmcnt(1)
	v_lshlrev_b32_e32 v96, 16, v98
	v_and_b32_e32 v7, 0xffff0000, v98
	v_and_b32_e32 v98, 0xffff0000, v99
	v_lshlrev_b32_e32 v104, 16, v101
	s_waitcnt vmcnt(0)
	v_lshlrev_b32_e32 v106, 16, v110
	v_fma_f32 v6, v96, v24, 0
	v_lshlrev_b32_e32 v97, 16, v99
	v_lshlrev_b32_e32 v108, 16, v111
	;; [unrolled: 1-line block ×3, first 2 shown]
	v_and_b32_e32 v100, 0xffff0000, v100
	v_fmac_f32_e32 v6, v7, v25
	v_and_b32_e32 v105, 0xffff0000, v101
	v_and_b32_e32 v107, 0xffff0000, v110
	v_lshlrev_b32_e32 v110, 16, v112
	s_delay_alu instid0(VALU_DEP_4) | instskip(SKIP_2) | instid1(VALU_DEP_3)
	v_dual_fmac_f32 v6, v97, v26 :: v_dual_and_b32 v109, 0xffff0000, v111
	v_and_b32_e32 v111, 0xffff0000, v112
	v_lshlrev_b32_e32 v112, 16, v113
	v_dual_fmac_f32 v6, v98, v27 :: v_dual_and_b32 v113, 0xffff0000, v113
	s_delay_alu instid0(VALU_DEP_1) | instskip(NEXT) | instid1(VALU_DEP_1)
	v_fmac_f32_e32 v6, v99, v28
	v_fmac_f32_e32 v6, v100, v29
	s_delay_alu instid0(VALU_DEP_1) | instskip(NEXT) | instid1(VALU_DEP_1)
	v_fmac_f32_e32 v6, v30, v104
	v_fmac_f32_e32 v6, v31, v105
	;; [unrolled: 3-line block ×6, first 2 shown]
	ds_bpermute_b32 v101, v19, v6
	s_waitcnt lgkmcnt(0)
	v_add_f32_e32 v6, v6, v101
	ds_bpermute_b32 v101, v20, v6
	s_waitcnt lgkmcnt(0)
	v_add_f32_e32 v6, v6, v101
	ds_bpermute_b32 v101, v21, v6
	s_waitcnt lgkmcnt(0)
	v_dual_add_f32 v6, v6, v101 :: v_dual_lshlrev_b32 v101, 1, v18
	s_cbranch_vccz .LBB19_16
; %bb.15:                               ;   in Loop: Header=BB19_14 Depth=1
	global_load_u16 v114, v101, s[18:19]
	s_waitcnt vmcnt(0)
	v_fma_mix_f32 v6, v16, v114, v6 op_sel_hi:[0,1,0]
.LBB19_16:                              ;   in Loop: Header=BB19_14 Depth=1
	v_fma_f32 v96, v96, v40, 0
	s_and_not1_b32 vcc_lo, exec_lo, s27
	s_delay_alu instid0(VALU_DEP_1) | instskip(NEXT) | instid1(VALU_DEP_1)
	v_fmac_f32_e32 v96, v7, v41
	v_fmac_f32_e32 v96, v97, v42
	s_delay_alu instid0(VALU_DEP_1) | instskip(NEXT) | instid1(VALU_DEP_1)
	v_fmac_f32_e32 v96, v98, v43
	v_fmac_f32_e32 v96, v99, v44
	;; [unrolled: 3-line block ×7, first 2 shown]
	s_delay_alu instid0(VALU_DEP_1)
	v_fmac_f32_e32 v96, v113, v59
	ds_bpermute_b32 v7, v19, v96
	s_waitcnt lgkmcnt(0)
	v_add_f32_e32 v7, v96, v7
	ds_bpermute_b32 v96, v20, v7
	s_waitcnt lgkmcnt(0)
	v_add_f32_e32 v7, v7, v96
	;; [unrolled: 3-line block ×3, first 2 shown]
	s_cbranch_vccnz .LBB19_18
; %bb.17:                               ;   in Loop: Header=BB19_14 Depth=1
	v_add_co_u32 v96, vcc_lo, s18, v0
	v_add_co_ci_u32_e32 v97, vcc_lo, s19, v1, vcc_lo
	global_load_u16 v96, v[96:97], off
	s_waitcnt vmcnt(0)
	v_fma_mix_f32 v7, v16, v96, v7 op_sel_hi:[0,1,0]
.LBB19_18:                              ;   in Loop: Header=BB19_14 Depth=1
	v_add_co_u32 v96, vcc_lo, v102, v47
	v_add_co_ci_u32_e32 v97, vcc_lo, v103, v60, vcc_lo
	s_and_not1_b32 vcc_lo, exec_lo, s26
	s_clause 0x1
	global_load_b128 v[104:107], v[96:97], off
	global_load_b128 v[112:115], v[96:97], off offset:128
	s_waitcnt vmcnt(1)
	v_lshlrev_b32_e32 v98, 16, v104
	v_and_b32_e32 v100, 0xffff0000, v105
	v_lshlrev_b32_e32 v99, 16, v105
	v_and_b32_e32 v97, 0xffff0000, v104
	v_lshlrev_b32_e32 v104, 16, v106
	v_fma_f32 v96, v98, v24, 0
	s_waitcnt vmcnt(0)
	v_lshlrev_b32_e32 v108, 16, v112
	v_lshlrev_b32_e32 v110, 16, v113
	v_and_b32_e32 v105, 0xffff0000, v106
	v_lshlrev_b32_e32 v106, 16, v107
	v_dual_fmac_f32 v96, v97, v25 :: v_dual_and_b32 v107, 0xffff0000, v107
	v_and_b32_e32 v109, 0xffff0000, v112
	v_lshlrev_b32_e32 v112, 16, v114
	s_delay_alu instid0(VALU_DEP_3) | instskip(SKIP_3) | instid1(VALU_DEP_4)
	v_dual_fmac_f32 v96, v99, v26 :: v_dual_and_b32 v111, 0xffff0000, v113
	v_and_b32_e32 v113, 0xffff0000, v114
	v_lshlrev_b32_e32 v114, 16, v115
	v_and_b32_e32 v115, 0xffff0000, v115
	v_fmac_f32_e32 v96, v100, v27
	s_delay_alu instid0(VALU_DEP_1) | instskip(NEXT) | instid1(VALU_DEP_1)
	v_fmac_f32_e32 v96, v104, v28
	v_fmac_f32_e32 v96, v105, v29
	s_delay_alu instid0(VALU_DEP_1) | instskip(NEXT) | instid1(VALU_DEP_1)
	v_fmac_f32_e32 v96, v30, v106
	;; [unrolled: 3-line block ×6, first 2 shown]
	v_fmac_f32_e32 v96, v39, v115
	ds_bpermute_b32 v116, v19, v96
	s_waitcnt lgkmcnt(0)
	v_add_f32_e32 v96, v96, v116
	ds_bpermute_b32 v116, v20, v96
	s_waitcnt lgkmcnt(0)
	v_add_f32_e32 v96, v96, v116
	;; [unrolled: 3-line block ×3, first 2 shown]
	s_cbranch_vccnz .LBB19_20
; %bb.19:                               ;   in Loop: Header=BB19_14 Depth=1
	global_load_u16 v116, v101, s[18:19] offset:2
	s_waitcnt vmcnt(0)
	v_fma_mix_f32 v96, v16, v116, v96 op_sel_hi:[0,1,0]
.LBB19_20:                              ;   in Loop: Header=BB19_14 Depth=1
	v_fma_f32 v98, v98, v40, 0
	s_and_not1_b32 vcc_lo, exec_lo, s27
	s_delay_alu instid0(VALU_DEP_1) | instskip(NEXT) | instid1(VALU_DEP_1)
	v_fmac_f32_e32 v98, v97, v41
	v_fmac_f32_e32 v98, v99, v42
	s_delay_alu instid0(VALU_DEP_1) | instskip(NEXT) | instid1(VALU_DEP_1)
	v_fmac_f32_e32 v98, v100, v43
	v_fmac_f32_e32 v98, v104, v44
	s_delay_alu instid0(VALU_DEP_1) | instskip(NEXT) | instid1(VALU_DEP_1)
	v_fmac_f32_e32 v98, v105, v45
	v_fmac_f32_e32 v98, v106, v46
	s_delay_alu instid0(VALU_DEP_1) | instskip(NEXT) | instid1(VALU_DEP_1)
	v_fmac_f32_e32 v98, v107, v48
	v_fmac_f32_e32 v98, v108, v49
	s_delay_alu instid0(VALU_DEP_1) | instskip(NEXT) | instid1(VALU_DEP_1)
	v_fmac_f32_e32 v98, v109, v50
	v_fmac_f32_e32 v98, v110, v52
	s_delay_alu instid0(VALU_DEP_1) | instskip(NEXT) | instid1(VALU_DEP_1)
	v_fmac_f32_e32 v98, v111, v53
	v_fmac_f32_e32 v98, v112, v54
	s_delay_alu instid0(VALU_DEP_1) | instskip(NEXT) | instid1(VALU_DEP_1)
	v_fmac_f32_e32 v98, v113, v56
	v_fmac_f32_e32 v98, v114, v57
	s_delay_alu instid0(VALU_DEP_1)
	v_fmac_f32_e32 v98, v115, v59
	ds_bpermute_b32 v97, v19, v98
	s_waitcnt lgkmcnt(0)
	v_add_f32_e32 v97, v98, v97
	ds_bpermute_b32 v98, v20, v97
	s_waitcnt lgkmcnt(0)
	v_add_f32_e32 v97, v97, v98
	;; [unrolled: 3-line block ×3, first 2 shown]
	s_cbranch_vccnz .LBB19_22
; %bb.21:                               ;   in Loop: Header=BB19_14 Depth=1
	v_add_co_u32 v98, vcc_lo, s18, v4
	v_add_co_ci_u32_e32 v99, vcc_lo, s19, v5, vcc_lo
	global_load_u16 v98, v[98:99], off offset:2
	s_waitcnt vmcnt(0)
	v_fma_mix_f32 v97, v16, v98, v97 op_sel_hi:[0,1,0]
.LBB19_22:                              ;   in Loop: Header=BB19_14 Depth=1
	v_add_co_u32 v98, vcc_lo, v102, v51
	v_add_co_ci_u32_e32 v99, vcc_lo, v103, v62, vcc_lo
	s_and_not1_b32 vcc_lo, exec_lo, s26
	s_clause 0x1
	global_load_b128 v[106:109], v[98:99], off
	global_load_b128 v[114:117], v[98:99], off offset:128
	s_waitcnt vmcnt(1)
	v_lshlrev_b32_e32 v100, 16, v106
	v_lshlrev_b32_e32 v104, 16, v107
	v_and_b32_e32 v105, 0xffff0000, v107
	v_and_b32_e32 v99, 0xffff0000, v106
	v_lshlrev_b32_e32 v106, 16, v108
	v_fma_f32 v98, v100, v24, 0
	s_waitcnt vmcnt(0)
	v_lshlrev_b32_e32 v110, 16, v114
	v_lshlrev_b32_e32 v112, 16, v115
	v_and_b32_e32 v107, 0xffff0000, v108
	v_lshlrev_b32_e32 v108, 16, v109
	v_fmac_f32_e32 v98, v99, v25
	v_and_b32_e32 v109, 0xffff0000, v109
	v_and_b32_e32 v111, 0xffff0000, v114
	v_lshlrev_b32_e32 v114, 16, v116
	s_delay_alu instid0(VALU_DEP_4) | instskip(SKIP_2) | instid1(VALU_DEP_3)
	v_dual_fmac_f32 v98, v104, v26 :: v_dual_and_b32 v113, 0xffff0000, v115
	v_and_b32_e32 v115, 0xffff0000, v116
	v_lshlrev_b32_e32 v116, 16, v117
	v_dual_fmac_f32 v98, v105, v27 :: v_dual_and_b32 v117, 0xffff0000, v117
	s_delay_alu instid0(VALU_DEP_1) | instskip(NEXT) | instid1(VALU_DEP_1)
	v_fmac_f32_e32 v98, v106, v28
	v_fmac_f32_e32 v98, v107, v29
	s_delay_alu instid0(VALU_DEP_1) | instskip(NEXT) | instid1(VALU_DEP_1)
	v_fmac_f32_e32 v98, v30, v108
	v_fmac_f32_e32 v98, v31, v109
	;; [unrolled: 3-line block ×6, first 2 shown]
	ds_bpermute_b32 v118, v19, v98
	s_waitcnt lgkmcnt(0)
	v_add_f32_e32 v98, v98, v118
	ds_bpermute_b32 v118, v20, v98
	s_waitcnt lgkmcnt(0)
	v_add_f32_e32 v98, v98, v118
	;; [unrolled: 3-line block ×3, first 2 shown]
	s_cbranch_vccnz .LBB19_24
; %bb.23:                               ;   in Loop: Header=BB19_14 Depth=1
	global_load_u16 v118, v101, s[18:19] offset:4
	s_waitcnt vmcnt(0)
	v_fma_mix_f32 v98, v16, v118, v98 op_sel_hi:[0,1,0]
.LBB19_24:                              ;   in Loop: Header=BB19_14 Depth=1
	v_fma_f32 v100, v100, v40, 0
	s_and_not1_b32 vcc_lo, exec_lo, s27
	s_delay_alu instid0(VALU_DEP_1) | instskip(NEXT) | instid1(VALU_DEP_1)
	v_fmac_f32_e32 v100, v99, v41
	v_fmac_f32_e32 v100, v104, v42
	s_delay_alu instid0(VALU_DEP_1) | instskip(NEXT) | instid1(VALU_DEP_1)
	v_fmac_f32_e32 v100, v105, v43
	v_fmac_f32_e32 v100, v106, v44
	;; [unrolled: 3-line block ×7, first 2 shown]
	s_delay_alu instid0(VALU_DEP_1)
	v_fmac_f32_e32 v100, v117, v59
	ds_bpermute_b32 v99, v19, v100
	s_waitcnt lgkmcnt(0)
	v_add_f32_e32 v99, v100, v99
	ds_bpermute_b32 v100, v20, v99
	s_waitcnt lgkmcnt(0)
	v_add_f32_e32 v99, v99, v100
	;; [unrolled: 3-line block ×3, first 2 shown]
	s_cbranch_vccnz .LBB19_26
; %bb.25:                               ;   in Loop: Header=BB19_14 Depth=1
	v_add_co_u32 v104, vcc_lo, s18, v4
	v_add_co_ci_u32_e32 v105, vcc_lo, s19, v5, vcc_lo
	global_load_u16 v100, v[104:105], off offset:4
	s_waitcnt vmcnt(0)
	v_fma_mix_f32 v99, v16, v100, v99 op_sel_hi:[0,1,0]
.LBB19_26:                              ;   in Loop: Header=BB19_14 Depth=1
	v_add_co_u32 v104, vcc_lo, v102, v55
	v_add_co_ci_u32_e32 v105, vcc_lo, v103, v63, vcc_lo
	s_and_not1_b32 vcc_lo, exec_lo, s26
	s_clause 0x1
	global_load_b128 v[108:111], v[104:105], off
	global_load_b128 v[116:119], v[104:105], off offset:128
	s_waitcnt vmcnt(1)
	v_and_b32_e32 v104, 0xffff0000, v108
	v_lshlrev_b32_e32 v105, 16, v108
	v_lshlrev_b32_e32 v106, 16, v109
	;; [unrolled: 1-line block ×3, first 2 shown]
	s_waitcnt vmcnt(0)
	v_lshlrev_b32_e32 v112, 16, v116
	v_lshlrev_b32_e32 v114, 16, v117
	v_fma_f32 v100, v105, v24, 0
	v_and_b32_e32 v113, 0xffff0000, v116
	v_lshlrev_b32_e32 v116, 16, v118
	v_and_b32_e32 v115, 0xffff0000, v117
	s_delay_alu instid0(VALU_DEP_4) | instskip(SKIP_3) | instid1(VALU_DEP_4)
	v_dual_fmac_f32 v100, v104, v25 :: v_dual_and_b32 v117, 0xffff0000, v118
	v_and_b32_e32 v107, 0xffff0000, v109
	v_and_b32_e32 v109, 0xffff0000, v110
	v_lshlrev_b32_e32 v110, 16, v111
	v_dual_fmac_f32 v100, v106, v26 :: v_dual_and_b32 v111, 0xffff0000, v111
	v_lshlrev_b32_e32 v118, 16, v119
	v_and_b32_e32 v119, 0xffff0000, v119
	s_delay_alu instid0(VALU_DEP_3) | instskip(NEXT) | instid1(VALU_DEP_1)
	v_fmac_f32_e32 v100, v107, v27
	v_fmac_f32_e32 v100, v108, v28
	s_delay_alu instid0(VALU_DEP_1) | instskip(NEXT) | instid1(VALU_DEP_1)
	v_fmac_f32_e32 v100, v109, v29
	v_fmac_f32_e32 v100, v30, v110
	s_delay_alu instid0(VALU_DEP_1) | instskip(NEXT) | instid1(VALU_DEP_1)
	;; [unrolled: 3-line block ×5, first 2 shown]
	v_fmac_f32_e32 v100, v37, v117
	v_fmac_f32_e32 v100, v38, v118
	s_delay_alu instid0(VALU_DEP_1)
	v_fmac_f32_e32 v100, v39, v119
	ds_bpermute_b32 v120, v19, v100
	s_waitcnt lgkmcnt(0)
	v_add_f32_e32 v100, v100, v120
	ds_bpermute_b32 v120, v20, v100
	s_waitcnt lgkmcnt(0)
	v_add_f32_e32 v100, v100, v120
	;; [unrolled: 3-line block ×3, first 2 shown]
	s_cbranch_vccnz .LBB19_28
; %bb.27:                               ;   in Loop: Header=BB19_14 Depth=1
	global_load_u16 v120, v101, s[18:19] offset:6
	s_waitcnt vmcnt(0)
	v_fma_mix_f32 v100, v16, v120, v100 op_sel_hi:[0,1,0]
.LBB19_28:                              ;   in Loop: Header=BB19_14 Depth=1
	v_fma_f32 v105, v105, v40, 0
	s_and_not1_b32 vcc_lo, exec_lo, s27
	s_delay_alu instid0(VALU_DEP_1) | instskip(NEXT) | instid1(VALU_DEP_1)
	v_fmac_f32_e32 v105, v104, v41
	v_fmac_f32_e32 v105, v106, v42
	s_delay_alu instid0(VALU_DEP_1) | instskip(NEXT) | instid1(VALU_DEP_1)
	v_fmac_f32_e32 v105, v107, v43
	v_fmac_f32_e32 v105, v108, v44
	;; [unrolled: 3-line block ×7, first 2 shown]
	s_delay_alu instid0(VALU_DEP_1)
	v_fmac_f32_e32 v105, v119, v59
	ds_bpermute_b32 v104, v19, v105
	s_waitcnt lgkmcnt(0)
	v_add_f32_e32 v104, v105, v104
	ds_bpermute_b32 v105, v20, v104
	s_waitcnt lgkmcnt(0)
	v_add_f32_e32 v104, v104, v105
	;; [unrolled: 3-line block ×3, first 2 shown]
	s_cbranch_vccnz .LBB19_30
; %bb.29:                               ;   in Loop: Header=BB19_14 Depth=1
	v_add_co_u32 v105, vcc_lo, s18, v4
	v_add_co_ci_u32_e32 v106, vcc_lo, s19, v5, vcc_lo
	global_load_u16 v105, v[105:106], off offset:6
	s_waitcnt vmcnt(0)
	v_fma_mix_f32 v104, v16, v105, v104 op_sel_hi:[0,1,0]
.LBB19_30:                              ;   in Loop: Header=BB19_14 Depth=1
	v_add_co_u32 v105, vcc_lo, v102, v58
	v_add_co_ci_u32_e32 v106, vcc_lo, v103, v65, vcc_lo
	s_and_not1_b32 vcc_lo, exec_lo, s26
	s_clause 0x1
	global_load_b128 v[110:113], v[105:106], off
	global_load_b128 v[118:121], v[105:106], off offset:128
	s_waitcnt vmcnt(1)
	v_lshlrev_b32_e32 v107, 16, v110
	v_and_b32_e32 v109, 0xffff0000, v111
	v_and_b32_e32 v106, 0xffff0000, v110
	s_waitcnt vmcnt(0)
	v_and_b32_e32 v115, 0xffff0000, v118
	v_and_b32_e32 v117, 0xffff0000, v119
	v_fma_f32 v105, v107, v24, 0
	v_lshlrev_b32_e32 v108, 16, v111
	v_and_b32_e32 v111, 0xffff0000, v112
	v_lshlrev_b32_e32 v110, 16, v112
	v_lshlrev_b32_e32 v112, 16, v113
	v_fmac_f32_e32 v105, v106, v25
	v_and_b32_e32 v113, 0xffff0000, v113
	v_lshlrev_b32_e32 v114, 16, v118
	v_lshlrev_b32_e32 v116, 16, v119
	v_and_b32_e32 v119, 0xffff0000, v120
	v_dual_fmac_f32 v105, v108, v26 :: v_dual_lshlrev_b32 v118, 16, v120
	v_lshlrev_b32_e32 v120, 16, v121
	v_and_b32_e32 v121, 0xffff0000, v121
	s_delay_alu instid0(VALU_DEP_3) | instskip(NEXT) | instid1(VALU_DEP_1)
	v_fmac_f32_e32 v105, v109, v27
	v_fmac_f32_e32 v105, v110, v28
	s_delay_alu instid0(VALU_DEP_1) | instskip(NEXT) | instid1(VALU_DEP_1)
	v_fmac_f32_e32 v105, v111, v29
	v_fmac_f32_e32 v105, v30, v112
	s_delay_alu instid0(VALU_DEP_1) | instskip(NEXT) | instid1(VALU_DEP_1)
	;; [unrolled: 3-line block ×5, first 2 shown]
	v_fmac_f32_e32 v105, v37, v119
	v_fmac_f32_e32 v105, v38, v120
	s_delay_alu instid0(VALU_DEP_1)
	v_fmac_f32_e32 v105, v39, v121
	ds_bpermute_b32 v122, v19, v105
	s_waitcnt lgkmcnt(0)
	v_add_f32_e32 v105, v105, v122
	ds_bpermute_b32 v122, v20, v105
	s_waitcnt lgkmcnt(0)
	v_add_f32_e32 v105, v105, v122
	;; [unrolled: 3-line block ×3, first 2 shown]
	s_cbranch_vccnz .LBB19_32
; %bb.31:                               ;   in Loop: Header=BB19_14 Depth=1
	global_load_u16 v122, v101, s[18:19] offset:8
	s_waitcnt vmcnt(0)
	v_fma_mix_f32 v105, v16, v122, v105 op_sel_hi:[0,1,0]
.LBB19_32:                              ;   in Loop: Header=BB19_14 Depth=1
	v_fma_f32 v107, v107, v40, 0
	s_and_not1_b32 vcc_lo, exec_lo, s27
	s_delay_alu instid0(VALU_DEP_1) | instskip(NEXT) | instid1(VALU_DEP_1)
	v_fmac_f32_e32 v107, v106, v41
	v_fmac_f32_e32 v107, v108, v42
	s_delay_alu instid0(VALU_DEP_1) | instskip(NEXT) | instid1(VALU_DEP_1)
	v_fmac_f32_e32 v107, v109, v43
	v_fmac_f32_e32 v107, v110, v44
	;; [unrolled: 3-line block ×7, first 2 shown]
	s_delay_alu instid0(VALU_DEP_1)
	v_fmac_f32_e32 v107, v121, v59
	ds_bpermute_b32 v106, v19, v107
	s_waitcnt lgkmcnt(0)
	v_add_f32_e32 v106, v107, v106
	ds_bpermute_b32 v107, v20, v106
	s_waitcnt lgkmcnt(0)
	v_add_f32_e32 v106, v106, v107
	;; [unrolled: 3-line block ×3, first 2 shown]
	s_cbranch_vccnz .LBB19_34
; %bb.33:                               ;   in Loop: Header=BB19_14 Depth=1
	v_add_co_u32 v107, vcc_lo, s18, v4
	v_add_co_ci_u32_e32 v108, vcc_lo, s19, v5, vcc_lo
	global_load_u16 v107, v[107:108], off offset:8
	s_waitcnt vmcnt(0)
	v_fma_mix_f32 v106, v16, v107, v106 op_sel_hi:[0,1,0]
.LBB19_34:                              ;   in Loop: Header=BB19_14 Depth=1
	v_add_co_u32 v107, vcc_lo, v102, v61
	v_add_co_ci_u32_e32 v108, vcc_lo, v103, v66, vcc_lo
	s_and_not1_b32 vcc_lo, exec_lo, s26
	s_clause 0x1
	global_load_b128 v[112:115], v[107:108], off
	global_load_b128 v[120:123], v[107:108], off offset:128
	s_waitcnt vmcnt(1)
	v_lshlrev_b32_e32 v109, 16, v112
	v_and_b32_e32 v111, 0xffff0000, v113
	v_lshlrev_b32_e32 v110, 16, v113
	v_and_b32_e32 v108, 0xffff0000, v112
	v_and_b32_e32 v113, 0xffff0000, v114
	v_fma_f32 v107, v109, v24, 0
	s_waitcnt vmcnt(0)
	v_and_b32_e32 v117, 0xffff0000, v120
	v_and_b32_e32 v119, 0xffff0000, v121
	v_lshlrev_b32_e32 v112, 16, v114
	v_dual_fmac_f32 v107, v108, v25 :: v_dual_lshlrev_b32 v114, 16, v115
	v_and_b32_e32 v115, 0xffff0000, v115
	v_lshlrev_b32_e32 v116, 16, v120
	v_lshlrev_b32_e32 v118, 16, v121
	v_and_b32_e32 v121, 0xffff0000, v122
	v_fmac_f32_e32 v107, v110, v26
	v_lshlrev_b32_e32 v120, 16, v122
	v_lshlrev_b32_e32 v122, 16, v123
	v_and_b32_e32 v123, 0xffff0000, v123
	s_delay_alu instid0(VALU_DEP_4) | instskip(NEXT) | instid1(VALU_DEP_1)
	v_fmac_f32_e32 v107, v111, v27
	v_fmac_f32_e32 v107, v112, v28
	s_delay_alu instid0(VALU_DEP_1) | instskip(NEXT) | instid1(VALU_DEP_1)
	v_fmac_f32_e32 v107, v113, v29
	v_fmac_f32_e32 v107, v30, v114
	s_delay_alu instid0(VALU_DEP_1) | instskip(NEXT) | instid1(VALU_DEP_1)
	;; [unrolled: 3-line block ×5, first 2 shown]
	v_fmac_f32_e32 v107, v37, v121
	v_fmac_f32_e32 v107, v38, v122
	s_delay_alu instid0(VALU_DEP_1)
	v_fmac_f32_e32 v107, v39, v123
	ds_bpermute_b32 v124, v19, v107
	s_waitcnt lgkmcnt(0)
	v_add_f32_e32 v107, v107, v124
	ds_bpermute_b32 v124, v20, v107
	s_waitcnt lgkmcnt(0)
	v_add_f32_e32 v107, v107, v124
	;; [unrolled: 3-line block ×3, first 2 shown]
	s_cbranch_vccnz .LBB19_36
; %bb.35:                               ;   in Loop: Header=BB19_14 Depth=1
	global_load_u16 v124, v101, s[18:19] offset:10
	s_waitcnt vmcnt(0)
	v_fma_mix_f32 v107, v16, v124, v107 op_sel_hi:[0,1,0]
.LBB19_36:                              ;   in Loop: Header=BB19_14 Depth=1
	v_fma_f32 v109, v109, v40, 0
	s_and_not1_b32 vcc_lo, exec_lo, s27
	s_delay_alu instid0(VALU_DEP_1) | instskip(NEXT) | instid1(VALU_DEP_1)
	v_fmac_f32_e32 v109, v108, v41
	v_fmac_f32_e32 v109, v110, v42
	s_delay_alu instid0(VALU_DEP_1) | instskip(NEXT) | instid1(VALU_DEP_1)
	v_fmac_f32_e32 v109, v111, v43
	v_fmac_f32_e32 v109, v112, v44
	;; [unrolled: 3-line block ×7, first 2 shown]
	s_delay_alu instid0(VALU_DEP_1)
	v_fmac_f32_e32 v109, v123, v59
	ds_bpermute_b32 v108, v19, v109
	s_waitcnt lgkmcnt(0)
	v_add_f32_e32 v108, v109, v108
	ds_bpermute_b32 v109, v20, v108
	s_waitcnt lgkmcnt(0)
	v_add_f32_e32 v108, v108, v109
	ds_bpermute_b32 v109, v21, v108
	s_waitcnt lgkmcnt(0)
	v_add_f32_e32 v108, v108, v109
	s_cbranch_vccnz .LBB19_38
; %bb.37:                               ;   in Loop: Header=BB19_14 Depth=1
	v_add_co_u32 v109, vcc_lo, s18, v4
	v_add_co_ci_u32_e32 v110, vcc_lo, s19, v5, vcc_lo
	global_load_u16 v109, v[109:110], off offset:10
	s_waitcnt vmcnt(0)
	v_fma_mix_f32 v108, v16, v109, v108 op_sel_hi:[0,1,0]
.LBB19_38:                              ;   in Loop: Header=BB19_14 Depth=1
	v_add_co_u32 v109, vcc_lo, v102, v64
	v_add_co_ci_u32_e32 v110, vcc_lo, v103, v68, vcc_lo
	s_and_not1_b32 vcc_lo, exec_lo, s26
	s_clause 0x1
	global_load_b128 v[114:117], v[109:110], off
	global_load_b128 v[122:125], v[109:110], off offset:128
	s_waitcnt vmcnt(1)
	v_lshlrev_b32_e32 v111, 16, v114
	v_and_b32_e32 v113, 0xffff0000, v115
	v_and_b32_e32 v110, 0xffff0000, v114
	s_waitcnt vmcnt(0)
	v_and_b32_e32 v119, 0xffff0000, v122
	v_and_b32_e32 v121, 0xffff0000, v123
	v_fma_f32 v109, v111, v24, 0
	v_lshlrev_b32_e32 v112, 16, v115
	v_and_b32_e32 v115, 0xffff0000, v116
	v_lshlrev_b32_e32 v114, 16, v116
	v_lshlrev_b32_e32 v116, 16, v117
	v_fmac_f32_e32 v109, v110, v25
	v_and_b32_e32 v117, 0xffff0000, v117
	v_lshlrev_b32_e32 v118, 16, v122
	v_lshlrev_b32_e32 v120, 16, v123
	v_and_b32_e32 v123, 0xffff0000, v124
	v_dual_fmac_f32 v109, v112, v26 :: v_dual_lshlrev_b32 v122, 16, v124
	v_lshlrev_b32_e32 v124, 16, v125
	v_and_b32_e32 v125, 0xffff0000, v125
	s_delay_alu instid0(VALU_DEP_3) | instskip(NEXT) | instid1(VALU_DEP_1)
	v_fmac_f32_e32 v109, v113, v27
	v_fmac_f32_e32 v109, v114, v28
	s_delay_alu instid0(VALU_DEP_1) | instskip(NEXT) | instid1(VALU_DEP_1)
	v_fmac_f32_e32 v109, v115, v29
	v_fmac_f32_e32 v109, v30, v116
	s_delay_alu instid0(VALU_DEP_1) | instskip(NEXT) | instid1(VALU_DEP_1)
	;; [unrolled: 3-line block ×5, first 2 shown]
	v_fmac_f32_e32 v109, v37, v123
	v_fmac_f32_e32 v109, v38, v124
	s_delay_alu instid0(VALU_DEP_1)
	v_fmac_f32_e32 v109, v39, v125
	ds_bpermute_b32 v126, v19, v109
	s_waitcnt lgkmcnt(0)
	v_add_f32_e32 v109, v109, v126
	ds_bpermute_b32 v126, v20, v109
	s_waitcnt lgkmcnt(0)
	v_add_f32_e32 v109, v109, v126
	;; [unrolled: 3-line block ×3, first 2 shown]
	s_cbranch_vccnz .LBB19_40
; %bb.39:                               ;   in Loop: Header=BB19_14 Depth=1
	global_load_u16 v126, v101, s[18:19] offset:12
	s_waitcnt vmcnt(0)
	v_fma_mix_f32 v109, v16, v126, v109 op_sel_hi:[0,1,0]
.LBB19_40:                              ;   in Loop: Header=BB19_14 Depth=1
	v_fma_f32 v111, v111, v40, 0
	s_and_not1_b32 vcc_lo, exec_lo, s27
	s_delay_alu instid0(VALU_DEP_1) | instskip(NEXT) | instid1(VALU_DEP_1)
	v_fmac_f32_e32 v111, v110, v41
	v_fmac_f32_e32 v111, v112, v42
	s_delay_alu instid0(VALU_DEP_1) | instskip(NEXT) | instid1(VALU_DEP_1)
	v_fmac_f32_e32 v111, v113, v43
	v_fmac_f32_e32 v111, v114, v44
	;; [unrolled: 3-line block ×7, first 2 shown]
	s_delay_alu instid0(VALU_DEP_1)
	v_fmac_f32_e32 v111, v125, v59
	ds_bpermute_b32 v110, v19, v111
	s_waitcnt lgkmcnt(0)
	v_add_f32_e32 v110, v111, v110
	ds_bpermute_b32 v111, v20, v110
	s_waitcnt lgkmcnt(0)
	v_add_f32_e32 v110, v110, v111
	;; [unrolled: 3-line block ×3, first 2 shown]
	s_cbranch_vccnz .LBB19_42
; %bb.41:                               ;   in Loop: Header=BB19_14 Depth=1
	v_add_co_u32 v111, vcc_lo, s18, v4
	v_add_co_ci_u32_e32 v112, vcc_lo, s19, v5, vcc_lo
	global_load_u16 v111, v[111:112], off offset:12
	s_waitcnt vmcnt(0)
	v_fma_mix_f32 v110, v16, v111, v110 op_sel_hi:[0,1,0]
.LBB19_42:                              ;   in Loop: Header=BB19_14 Depth=1
	v_add_co_u32 v102, vcc_lo, v102, v67
	v_add_co_ci_u32_e32 v103, vcc_lo, v103, v69, vcc_lo
	s_and_not1_b32 vcc_lo, exec_lo, s26
	s_clause 0x1
	global_load_b128 v[112:115], v[102:103], off
	global_load_b128 v[123:126], v[102:103], off offset:128
	s_waitcnt vmcnt(1)
	v_lshlrev_b32_e32 v111, 16, v113
	v_and_b32_e32 v103, 0xffff0000, v112
	v_lshlrev_b32_e32 v117, 16, v112
	v_and_b32_e32 v112, 0xffff0000, v113
	;; [unrolled: 2-line block ×3, first 2 shown]
	v_lshlrev_b32_e32 v116, 16, v115
	v_fma_f32 v102, v117, v24, 0
	s_waitcnt vmcnt(0)
	v_and_b32_e32 v118, 0xffff0000, v123
	v_and_b32_e32 v120, 0xffff0000, v124
	;; [unrolled: 1-line block ×3, first 2 shown]
	v_dual_fmac_f32 v102, v103, v25 :: v_dual_and_b32 v115, 0xffff0000, v115
	v_lshlrev_b32_e32 v119, 16, v123
	v_lshlrev_b32_e32 v121, 16, v124
	v_and_b32_e32 v124, 0xffff0000, v126
	s_delay_alu instid0(VALU_DEP_4) | instskip(NEXT) | instid1(VALU_DEP_1)
	v_dual_fmac_f32 v102, v111, v26 :: v_dual_lshlrev_b32 v123, 16, v125
	v_dual_fmac_f32 v102, v112, v27 :: v_dual_lshlrev_b32 v125, 16, v126
	s_delay_alu instid0(VALU_DEP_1) | instskip(NEXT) | instid1(VALU_DEP_1)
	v_fmac_f32_e32 v102, v113, v28
	v_fmac_f32_e32 v102, v114, v29
	s_delay_alu instid0(VALU_DEP_1) | instskip(NEXT) | instid1(VALU_DEP_1)
	v_fmac_f32_e32 v102, v116, v30
	v_fmac_f32_e32 v102, v115, v31
	;; [unrolled: 3-line block ×6, first 2 shown]
	ds_bpermute_b32 v126, v19, v102
	s_waitcnt lgkmcnt(0)
	v_add_f32_e32 v102, v102, v126
	ds_bpermute_b32 v126, v20, v102
	s_waitcnt lgkmcnt(0)
	v_add_f32_e32 v102, v102, v126
	ds_bpermute_b32 v126, v21, v102
	s_waitcnt lgkmcnt(0)
	v_add_f32_e32 v102, v102, v126
	s_cbranch_vccnz .LBB19_44
; %bb.43:                               ;   in Loop: Header=BB19_14 Depth=1
	global_load_u16 v101, v101, s[18:19] offset:14
	s_waitcnt vmcnt(0)
	v_fma_mix_f32 v102, v16, v101, v102 op_sel_hi:[0,1,0]
.LBB19_44:                              ;   in Loop: Header=BB19_14 Depth=1
	v_fma_f32 v101, v117, v40, 0
	s_and_not1_b32 vcc_lo, exec_lo, s27
	s_delay_alu instid0(VALU_DEP_1) | instskip(NEXT) | instid1(VALU_DEP_1)
	v_fmac_f32_e32 v101, v103, v41
	v_fmac_f32_e32 v101, v111, v42
	s_delay_alu instid0(VALU_DEP_1) | instskip(NEXT) | instid1(VALU_DEP_1)
	v_fmac_f32_e32 v101, v112, v43
	v_fmac_f32_e32 v101, v113, v44
	;; [unrolled: 3-line block ×7, first 2 shown]
	s_delay_alu instid0(VALU_DEP_1)
	v_fmac_f32_e32 v101, v124, v59
	ds_bpermute_b32 v103, v19, v101
	s_waitcnt lgkmcnt(0)
	v_add_f32_e32 v101, v101, v103
	ds_bpermute_b32 v103, v20, v101
	s_waitcnt lgkmcnt(0)
	v_add_f32_e32 v101, v101, v103
	;; [unrolled: 3-line block ×3, first 2 shown]
	s_cbranch_vccnz .LBB19_46
; %bb.45:                               ;   in Loop: Header=BB19_14 Depth=1
	v_add_co_u32 v111, vcc_lo, s18, v4
	v_add_co_ci_u32_e32 v112, vcc_lo, s19, v5, vcc_lo
	global_load_u16 v103, v[111:112], off offset:14
	s_waitcnt vmcnt(0)
	v_fma_mix_f32 v101, v16, v103, v101 op_sel_hi:[0,1,0]
.LBB19_46:                              ;   in Loop: Header=BB19_14 Depth=1
	v_add_co_u32 v103, vcc_lo, s11, v70
	v_add_co_ci_u32_e32 v115, vcc_lo, s13, v74, vcc_lo
	scratch_load_b128 v[111:114], off, off
	v_add_co_u32 v123, vcc_lo, v103, v91
	v_add_co_ci_u32_e32 v124, vcc_lo, 0, v115, vcc_lo
	v_add_co_u32 v103, vcc_lo, s11, v75
	v_add_co_ci_u32_e32 v131, vcc_lo, s13, v83, vcc_lo
	scratch_load_b128 v[115:118], off, off offset:16
	s_clause 0x1
	global_load_b128 v[119:122], v[123:124], off
	global_load_b128 v[123:126], v[123:124], off offset:128
	v_add_co_u32 v139, vcc_lo, v103, v91
	v_add_co_ci_u32_e32 v140, vcc_lo, 0, v131, vcc_lo
	v_add_co_u32 v103, vcc_lo, s11, v76
	v_add_co_ci_u32_e32 v143, vcc_lo, s13, v84, vcc_lo
	scratch_load_b128 v[127:130], off, off offset:32
	v_add_co_u32 v147, vcc_lo, v103, v91
	v_add_co_ci_u32_e32 v148, vcc_lo, 0, v143, vcc_lo
	v_add_co_u32 v103, vcc_lo, s11, v77
	v_add_co_ci_u32_e32 v151, vcc_lo, s13, v85, vcc_lo
	scratch_load_b128 v[131:134], off, off offset:48
	s_clause 0x1
	global_load_b128 v[135:138], v[139:140], off
	global_load_b128 v[139:142], v[139:140], off offset:128
	v_add_co_u32 v155, vcc_lo, v103, v91
	v_add_co_ci_u32_e32 v156, vcc_lo, 0, v151, vcc_lo
	v_add_co_u32 v103, vcc_lo, s11, v78
	v_add_co_ci_u32_e32 v159, vcc_lo, s13, v86, vcc_lo
	s_clause 0x1
	global_load_b128 v[143:146], v[147:148], off
	global_load_b128 v[147:150], v[147:148], off offset:128
	v_add_co_u32 v163, vcc_lo, v103, v91
	v_add_co_ci_u32_e32 v164, vcc_lo, 0, v159, vcc_lo
	v_add_co_u32 v103, vcc_lo, s11, v79
	v_add_co_ci_u32_e32 v167, vcc_lo, s13, v87, vcc_lo
	s_clause 0x1
	global_load_b128 v[151:154], v[155:156], off
	global_load_b128 v[155:158], v[155:156], off offset:128
	v_add_co_u32 v171, vcc_lo, v103, v91
	v_add_co_ci_u32_e32 v172, vcc_lo, 0, v167, vcc_lo
	v_add_co_u32 v103, vcc_lo, s11, v80
	v_add_co_ci_u32_e32 v175, vcc_lo, s13, v88, vcc_lo
	s_clause 0x1
	global_load_b128 v[159:162], v[163:164], off
	global_load_b128 v[163:166], v[163:164], off offset:128
	v_add_co_u32 v179, vcc_lo, v103, v91
	v_add_co_ci_u32_e32 v180, vcc_lo, 0, v175, vcc_lo
	v_add_co_u32 v103, vcc_lo, s11, v81
	s_clause 0x1
	global_load_b128 v[167:170], v[171:172], off
	global_load_b128 v[171:174], v[171:172], off offset:128
	v_add_co_ci_u32_e32 v183, vcc_lo, s13, v89, vcc_lo
	v_add_co_u32 v187, vcc_lo, v103, v91
	s_clause 0x1
	global_load_b128 v[175:178], v[179:180], off
	global_load_b128 v[179:182], v[179:180], off offset:128
	v_add_co_ci_u32_e32 v188, vcc_lo, 0, v183, vcc_lo
	s_clause 0x1
	global_load_b128 v[183:186], v[187:188], off
	global_load_b128 v[187:190], v[187:188], off offset:128
	v_dual_add_f32 v103, 0x40051340, v6 :: v_dual_add_f32 v194, 0x40051340, v105
	v_dual_add_f32 v191, 0x40051340, v96 :: v_dual_add_f32 v192, 0x40051340, v98
	;; [unrolled: 1-line block ×4, first 2 shown]
	s_delay_alu instid0(VALU_DEP_3) | instskip(SKIP_2) | instid1(VALU_DEP_4)
	v_max3_f32 v103, v94, v103, v191
	v_add_f32_e32 v197, 0x40051340, v107
	v_add_f32_e32 v191, 0x40051340, v99
	v_max3_f32 v195, v95, v195, v196
	v_add_f32_e32 v196, 0x40051340, v109
	v_max3_f32 v103, v103, v192, v193
	v_dual_add_f32 v192, 0x40051340, v106 :: v_dual_add_f32 v193, 0x40051340, v108
	s_delay_alu instid0(VALU_DEP_4) | instskip(SKIP_1) | instid1(VALU_DEP_4)
	v_max3_f32 v191, v195, v191, v198
	v_add_f32_e32 v195, 0x40051340, v102
	v_max3_f32 v103, v103, v194, v197
	v_dual_add_f32 v194, 0x40051340, v110 :: v_dual_add_f32 v197, 0x40051340, v101
	s_delay_alu instid0(VALU_DEP_4) | instskip(SKIP_1) | instid1(VALU_DEP_4)
	v_max3_f32 v191, v191, v192, v193
	v_cndmask_b32_e64 v6, v92, v6, s2
	v_max3_f32 v103, v103, v196, v195
	v_cndmask_b32_e64 v7, v93, v7, s2
	s_add_i32 s10, s16, s10
	v_max3_f32 v191, v191, v194, v197
	v_cndmask_b32_e64 v6, v6, v96, s3
	ds_bpermute_b32 v192, v71, v103
	v_cndmask_b32_e64 v7, v7, v97, s3
	s_add_u32 s20, s20, s22
	ds_bpermute_b32 v193, v71, v191
	v_cndmask_b32_e64 v6, v6, v98, s4
	s_addc_u32 s21, s21, 0
	v_cndmask_b32_e64 v7, v7, v99, s4
	s_add_u32 s11, s11, s23
	s_addc_u32 s13, s13, 0
	v_cndmask_b32_e64 v6, v6, v100, s5
	s_lshl_b64 s[36:37], s[16:17], 1
	v_cndmask_b32_e64 v7, v7, v104, s5
	s_add_u32 s18, s18, s36
	s_addc_u32 s19, s19, s37
	v_cndmask_b32_e64 v6, v6, v105, s6
	s_cmp_ge_i32 s10, s42
	v_cndmask_b32_e64 v7, v7, v106, s6
	s_delay_alu instid0(VALU_DEP_2) | instskip(SKIP_2) | instid1(VALU_DEP_3)
	v_cndmask_b32_e64 v6, v6, v107, s7
	s_waitcnt lgkmcnt(1)
	v_max_f32_e32 v192, v192, v192
	v_cndmask_b32_e64 v7, v7, v108, s7
	s_waitcnt lgkmcnt(0)
	v_max_f32_e32 v92, v193, v193
	v_cndmask_b32_e64 v98, v6, v109, s8
	v_max_f32_e32 v93, v103, v192
	v_cndmask_b32_e64 v99, v7, v110, s8
	s_delay_alu instid0(VALU_DEP_4) | instskip(SKIP_4) | instid1(VALU_DEP_1)
	v_max_f32_e32 v92, v191, v92
	ds_bpermute_b32 v96, v72, v93
	ds_bpermute_b32 v97, v72, v92
	s_waitcnt lgkmcnt(0)
	v_dual_max_f32 v96, v96, v96 :: v_dual_max_f32 v97, v97, v97
	v_max_f32_e32 v6, v93, v96
	v_cndmask_b32_e64 v93, v98, v102, s9
	s_delay_alu instid0(VALU_DEP_3) | instskip(SKIP_1) | instid1(VALU_DEP_4)
	v_max_f32_e32 v7, v92, v97
	v_cndmask_b32_e64 v92, v99, v101, s9
	v_sub_f32_e32 v94, v94, v6
	s_delay_alu instid0(VALU_DEP_4) | instskip(NEXT) | instid1(VALU_DEP_4)
	v_sub_f32_e32 v93, v93, v6
	v_sub_f32_e32 v95, v95, v7
	s_delay_alu instid0(VALU_DEP_4) | instskip(NEXT) | instid1(VALU_DEP_3)
	v_sub_f32_e32 v96, v92, v7
	v_dual_mul_f32 v92, 0x3fb8aa3b, v94 :: v_dual_mul_f32 v97, 0x3fb8aa3b, v93
	v_cmp_ngt_f32_e32 vcc_lo, 0xc2ce8ed0, v94
	s_delay_alu instid0(VALU_DEP_3) | instskip(NEXT) | instid1(VALU_DEP_3)
	v_dual_mul_f32 v98, 0x3fb8aa3b, v95 :: v_dual_mul_f32 v99, 0x3fb8aa3b, v96
	v_fma_f32 v100, 0x3fb8aa3b, v94, -v92
	v_rndne_f32_e32 v101, v92
	v_rndne_f32_e32 v103, v97
	v_fma_f32 v102, 0x3fb8aa3b, v93, -v97
	v_rndne_f32_e32 v107, v99
	v_fmac_f32_e32 v100, 0x32a5705f, v94
	v_sub_f32_e32 v92, v92, v101
	v_fma_f32 v106, 0x3fb8aa3b, v96, -v99
	v_sub_f32_e32 v97, v97, v103
	v_sub_f32_e32 v99, v99, v107
	v_fma_f32 v104, 0x3fb8aa3b, v95, -v98
	v_add_f32_e32 v92, v92, v100
	v_cvt_i32_f32_e32 v100, v101
	v_rndne_f32_e32 v105, v98
	v_cvt_i32_f32_e32 v101, v103
	v_cvt_i32_f32_e32 v103, v107
	v_exp_f32_e32 v92, v92
	s_waitcnt_depctr 0xfff
	v_ldexp_f32 v92, v92, v100
	s_delay_alu instid0(VALU_DEP_1) | instskip(SKIP_2) | instid1(VALU_DEP_1)
	v_cndmask_b32_e32 v92, 0, v92, vcc_lo
	v_cmp_ngt_f32_e32 vcc_lo, 0xc2ce8ed0, v93
	v_fmac_f32_e32 v106, 0x32a5705f, v96
	v_dual_fmac_f32 v102, 0x32a5705f, v93 :: v_dual_add_f32 v99, v99, v106
	s_delay_alu instid0(VALU_DEP_1) | instskip(SKIP_1) | instid1(VALU_DEP_3)
	v_dual_fmac_f32 v104, 0x32a5705f, v95 :: v_dual_add_f32 v97, v97, v102
	v_cvt_i32_f32_e32 v102, v105
	v_exp_f32_e32 v99, v99
	s_delay_alu instid0(VALU_DEP_2) | instskip(SKIP_4) | instid1(VALU_DEP_1)
	v_exp_f32_e32 v97, v97
	s_waitcnt_depctr 0xfff
	v_ldexp_f32 v99, v99, v103
	v_sub_f32_e32 v98, v98, v105
	v_ldexp_f32 v97, v97, v101
	v_dual_add_f32 v98, v98, v104 :: v_dual_cndmask_b32 v97, 0, v97
	v_cmp_ngt_f32_e32 vcc_lo, 0xc2ce8ed0, v95
	s_delay_alu instid0(VALU_DEP_2) | instskip(SKIP_2) | instid1(VALU_DEP_1)
	v_exp_f32_e32 v98, v98
	s_waitcnt_depctr 0xfff
	v_ldexp_f32 v98, v98, v102
	v_cndmask_b32_e32 v98, 0, v98, vcc_lo
	v_cmp_ngt_f32_e32 vcc_lo, 0xc2ce8ed0, v96
	v_cndmask_b32_e32 v99, 0, v99, vcc_lo
	v_cmp_nlt_f32_e32 vcc_lo, 0x42b17218, v94
	v_cndmask_b32_e32 v94, 0x7f800000, v92, vcc_lo
	v_cmp_nlt_f32_e32 vcc_lo, 0x42b17218, v93
	s_delay_alu instid0(VALU_DEP_2) | instskip(SKIP_2) | instid1(VALU_DEP_2)
	v_cvt_f16_f32_e32 v101, v94
	v_cndmask_b32_e32 v92, 0x7f800000, v97, vcc_lo
	v_cmp_nlt_f32_e32 vcc_lo, 0x42b17218, v96
	v_cvt_f16_f32_e32 v96, v92
	v_cndmask_b32_e32 v93, 0x7f800000, v99, vcc_lo
	v_cmp_nlt_f32_e32 vcc_lo, 0x42b17218, v95
	v_fma_f32 v2, v2, v94, v92
	s_delay_alu instid0(VALU_DEP_3)
	v_cvt_f16_f32_e32 v97, v93
	ds_store_b16 v11, v96
	ds_store_b16 v11, v97 offset:256
	v_cndmask_b32_e32 v95, 0x7f800000, v98, vcc_lo
	ds_load_u16 v103, v73 offset:256
	ds_load_u16 v104, v73
	ds_load_u16 v105, v73 offset:8
	ds_load_u16 v106, v73 offset:16
	;; [unrolled: 1-line block ×14, first 2 shown]
	v_fma_f32 v3, v3, v95, v93
	v_cvt_f16_f32_e32 v102, v95
	s_waitcnt vmcnt(19)
	v_pk_mul_f16 v95, v101, v112 op_sel_hi:[0,1]
	v_pk_mul_f16 v96, v101, v113 op_sel_hi:[0,1]
	;; [unrolled: 1-line block ×4, first 2 shown]
	s_waitcnt vmcnt(18)
	v_pk_mul_f16 v99, v101, v116 op_sel_hi:[0,1]
	v_pk_mul_f16 v98, v101, v115 op_sel_hi:[0,1]
	;; [unrolled: 1-line block ×4, first 2 shown]
	s_waitcnt vmcnt(17) lgkmcnt(15)
	v_pk_mul_f16 v112, v119, v103 op_sel_hi:[1,0]
	v_pk_mul_f16 v114, v120, v103 op_sel_hi:[1,0]
	;; [unrolled: 1-line block ×4, first 2 shown]
	s_waitcnt lgkmcnt(14)
	v_pk_fma_f16 v113, v120, v104, v95 op_sel_hi:[1,0,1]
	v_pk_fma_f16 v115, v121, v104, v96 op_sel_hi:[1,0,1]
	;; [unrolled: 1-line block ×3, first 2 shown]
	s_waitcnt vmcnt(16)
	v_pk_mul_f16 v120, v123, v103 op_sel_hi:[1,0]
	v_pk_fma_f16 v121, v124, v104, v99 op_sel_hi:[1,0,1]
	v_pk_mul_f16 v122, v124, v103 op_sel_hi:[1,0]
	v_pk_mul_f16 v124, v125, v103 op_sel_hi:[1,0]
	v_pk_mul_f16 v103, v126, v103 op_sel_hi:[1,0]
	v_pk_fma_f16 v111, v119, v104, v94 op_sel_hi:[1,0,1]
	v_pk_fma_f16 v119, v123, v104, v98 op_sel_hi:[1,0,1]
	;; [unrolled: 1-line block ×4, first 2 shown]
	s_waitcnt vmcnt(15)
	v_pk_fma_f16 v112, v102, v127, v112 op_sel_hi:[0,1,1]
	v_pk_fma_f16 v114, v102, v128, v114 op_sel_hi:[0,1,1]
	;; [unrolled: 1-line block ×4, first 2 shown]
	s_waitcnt vmcnt(14)
	v_pk_fma_f16 v120, v102, v131, v120 op_sel_hi:[0,1,1]
	v_pk_fma_f16 v122, v102, v132, v122 op_sel_hi:[0,1,1]
	v_pk_fma_f16 v124, v102, v133, v124 op_sel_hi:[0,1,1]
	v_pk_fma_f16 v102, v102, v134, v103 op_sel_hi:[0,1,1]
	s_waitcnt vmcnt(13) lgkmcnt(13)
	v_pk_fma_f16 v103, v135, v105, v111 op_sel_hi:[1,0,1]
	v_pk_fma_f16 v111, v136, v105, v113 op_sel_hi:[1,0,1]
	;; [unrolled: 1-line block ×4, first 2 shown]
	s_waitcnt vmcnt(12)
	v_pk_fma_f16 v117, v139, v105, v119 op_sel_hi:[1,0,1]
	v_pk_fma_f16 v119, v140, v105, v121 op_sel_hi:[1,0,1]
	;; [unrolled: 1-line block ×4, first 2 shown]
	s_waitcnt lgkmcnt(1)
	v_pk_fma_f16 v105, v135, v197, v112 op_sel_hi:[1,0,1]
	v_pk_fma_f16 v112, v136, v197, v114 op_sel_hi:[1,0,1]
	v_pk_fma_f16 v114, v137, v197, v116 op_sel_hi:[1,0,1]
	v_pk_fma_f16 v116, v138, v197, v118 op_sel_hi:[1,0,1]
	v_pk_fma_f16 v118, v139, v197, v120 op_sel_hi:[1,0,1]
	v_pk_fma_f16 v120, v140, v197, v122 op_sel_hi:[1,0,1]
	v_pk_fma_f16 v122, v141, v197, v124 op_sel_hi:[1,0,1]
	v_pk_fma_f16 v102, v142, v197, v102 op_sel_hi:[1,0,1]
	s_waitcnt vmcnt(11)
	v_pk_fma_f16 v103, v143, v106, v103 op_sel_hi:[1,0,1]
	v_pk_fma_f16 v111, v144, v106, v111 op_sel_hi:[1,0,1]
	v_pk_fma_f16 v113, v145, v106, v113 op_sel_hi:[1,0,1]
	v_pk_fma_f16 v115, v146, v106, v115 op_sel_hi:[1,0,1]
	s_waitcnt vmcnt(10)
	v_pk_fma_f16 v117, v147, v106, v117 op_sel_hi:[1,0,1]
	v_pk_fma_f16 v119, v148, v106, v119 op_sel_hi:[1,0,1]
	v_pk_fma_f16 v121, v149, v106, v121 op_sel_hi:[1,0,1]
	v_pk_fma_f16 v104, v150, v106, v104 op_sel_hi:[1,0,1]
	v_pk_fma_f16 v105, v143, v192, v105 op_sel_hi:[1,0,1]
	v_pk_fma_f16 v106, v144, v192, v112 op_sel_hi:[1,0,1]
	v_pk_fma_f16 v112, v145, v192, v114 op_sel_hi:[1,0,1]
	v_pk_fma_f16 v114, v146, v192, v116 op_sel_hi:[1,0,1]
	v_pk_fma_f16 v116, v147, v192, v118 op_sel_hi:[1,0,1]
	v_pk_fma_f16 v118, v148, v192, v120 op_sel_hi:[1,0,1]
	v_pk_fma_f16 v120, v149, v192, v122 op_sel_hi:[1,0,1]
	v_pk_fma_f16 v102, v150, v192, v102 op_sel_hi:[1,0,1]
	s_waitcnt vmcnt(9)
	v_pk_fma_f16 v103, v151, v107, v103 op_sel_hi:[1,0,1]
	v_pk_fma_f16 v111, v152, v107, v111 op_sel_hi:[1,0,1]
	v_pk_fma_f16 v113, v153, v107, v113 op_sel_hi:[1,0,1]
	v_pk_fma_f16 v115, v154, v107, v115 op_sel_hi:[1,0,1]
	s_waitcnt vmcnt(8)
	v_pk_fma_f16 v117, v155, v107, v117 op_sel_hi:[1,0,1]
	v_pk_fma_f16 v119, v156, v107, v119 op_sel_hi:[1,0,1]
	v_pk_fma_f16 v121, v157, v107, v121 op_sel_hi:[1,0,1]
	v_pk_fma_f16 v104, v158, v107, v104 op_sel_hi:[1,0,1]
	;; [unrolled: 18-line block ×3, first 2 shown]
	s_waitcnt lgkmcnt(0)
	v_pk_fma_f16 v105, v159, v198, v105 op_sel_hi:[1,0,1]
	v_pk_fma_f16 v106, v160, v198, v106 op_sel_hi:[1,0,1]
	v_pk_fma_f16 v107, v161, v198, v107 op_sel_hi:[1,0,1]
	v_pk_fma_f16 v108, v162, v198, v112 op_sel_hi:[1,0,1]
	v_pk_fma_f16 v112, v163, v198, v114 op_sel_hi:[1,0,1]
	v_pk_fma_f16 v114, v164, v198, v116 op_sel_hi:[1,0,1]
	v_pk_fma_f16 v116, v165, v198, v118 op_sel_hi:[1,0,1]
	v_pk_fma_f16 v102, v166, v198, v102 op_sel_hi:[1,0,1]
	s_waitcnt vmcnt(5)
	v_pk_fma_f16 v103, v167, v109, v103 op_sel_hi:[1,0,1]
	v_pk_fma_f16 v111, v168, v109, v111 op_sel_hi:[1,0,1]
	v_pk_fma_f16 v113, v169, v109, v113 op_sel_hi:[1,0,1]
	v_pk_fma_f16 v115, v170, v109, v115 op_sel_hi:[1,0,1]
	s_waitcnt vmcnt(4)
	v_pk_fma_f16 v117, v171, v109, v117 op_sel_hi:[1,0,1]
	v_pk_fma_f16 v118, v172, v109, v119 op_sel_hi:[1,0,1]
	v_pk_fma_f16 v119, v173, v109, v120 op_sel_hi:[1,0,1]
	v_pk_fma_f16 v104, v174, v109, v104 op_sel_hi:[1,0,1]
	v_pk_fma_f16 v105, v167, v194, v105 op_sel_hi:[1,0,1]
	v_pk_fma_f16 v106, v168, v194, v106 op_sel_hi:[1,0,1]
	v_pk_fma_f16 v107, v169, v194, v107 op_sel_hi:[1,0,1]
	v_pk_fma_f16 v108, v170, v194, v108 op_sel_hi:[1,0,1]
	v_pk_fma_f16 v109, v171, v194, v112 op_sel_hi:[1,0,1]
	v_pk_fma_f16 v112, v172, v194, v114 op_sel_hi:[1,0,1]
	v_pk_fma_f16 v114, v173, v194, v116 op_sel_hi:[1,0,1]
	v_pk_fma_f16 v102, v174, v194, v102 op_sel_hi:[1,0,1]
	s_waitcnt vmcnt(3)
	v_pk_fma_f16 v103, v175, v110, v103 op_sel_hi:[1,0,1]
	v_pk_fma_f16 v111, v176, v110, v111 op_sel_hi:[1,0,1]
	v_pk_fma_f16 v113, v177, v110, v113 op_sel_hi:[1,0,1]
	v_pk_fma_f16 v115, v178, v110, v115 op_sel_hi:[1,0,1]
	s_waitcnt vmcnt(2)
	v_pk_fma_f16 v116, v179, v110, v117 op_sel_hi:[1,0,1]
	v_pk_fma_f16 v117, v180, v110, v118 op_sel_hi:[1,0,1]
	v_pk_fma_f16 v118, v181, v110, v119 op_sel_hi:[1,0,1]
	v_pk_fma_f16 v110, v182, v110, v104 op_sel_hi:[1,0,1]
	;; [unrolled: 18-line block ×3, first 2 shown]
	v_pk_fma_f16 v110, v183, v196, v119 op_sel_hi:[1,0,1]
	v_pk_fma_f16 v111, v184, v196, v120 op_sel_hi:[1,0,1]
	;; [unrolled: 1-line block ×8, first 2 shown]
	s_clause 0x5
	scratch_store_b128 off, v[94:97], off
	scratch_store_b128 off, v[98:101], off offset:16
	scratch_store_b128 off, v[102:105], off
	scratch_store_b128 off, v[106:109], off offset:16
	scratch_store_b128 off, v[110:113], off offset:32
	;; [unrolled: 1-line block ×3, first 2 shown]
	s_cbranch_scc1 .LBB19_48
; %bb.47:                               ;   in Loop: Header=BB19_14 Depth=1
	v_dual_mov_b32 v94, v6 :: v_dual_mov_b32 v95, v7
	s_branch .LBB19_14
.LBB19_48:
	s_cmp_lg_u64 s[24:25], 0
	v_cmp_gt_u32_e32 vcc_lo, 2, v12
	s_cselect_b32 s2, -1, 0
	s_cmp_eq_u32 s14, 0
	s_cselect_b32 s3, -1, 0
	s_delay_alu instid0(SALU_CYCLE_1) | instskip(NEXT) | instid1(SALU_CYCLE_1)
	s_and_b32 s2, s3, s2
	s_and_b32 s2, vcc_lo, s2
	s_delay_alu instid0(SALU_CYCLE_1)
	s_and_saveexec_b32 s3, s2
	s_cbranch_execz .LBB19_50
; %bb.49:
	s_clause 0x1
	scratch_load_b128 v[18:21], v17, off
	scratch_load_b128 v[22:25], v17, off offset:16
	s_ashr_i32 s13, s12, 31
	v_cmp_eq_u32_e32 vcc_lo, 1, v12
	s_lshl_b64 s[4:5], s[12:13], 2
	s_delay_alu instid0(SALU_CYCLE_1)
	s_add_u32 s4, s24, s4
	s_addc_u32 s5, s25, s5
	s_load_b32 s2, s[4:5], 0x0
	s_waitcnt lgkmcnt(0)
	v_max_f32_e64 v4, s2, s2
	v_cndmask_b32_e32 v0, v6, v7, vcc_lo
	s_delay_alu instid0(VALU_DEP_1) | instskip(NEXT) | instid1(VALU_DEP_1)
	v_max_f32_e32 v1, v0, v0
	v_max_f32_e32 v1, v4, v1
	s_delay_alu instid0(VALU_DEP_1) | instskip(SKIP_2) | instid1(VALU_DEP_3)
	v_sub_f32_e32 v4, s2, v1
	v_sub_f32_e32 v0, v0, v1
	v_cndmask_b32_e32 v7, v7, v1, vcc_lo
	v_mul_f32_e32 v5, 0x3fb8aa3b, v4
	s_delay_alu instid0(VALU_DEP_1) | instskip(SKIP_1) | instid1(VALU_DEP_1)
	v_fma_f32 v26, 0x3fb8aa3b, v4, -v5
	v_rndne_f32_e32 v27, v5
	v_dual_sub_f32 v5, v5, v27 :: v_dual_fmac_f32 v26, 0x32a5705f, v4
	v_mul_f32_e32 v16, 0x3fb8aa3b, v0
	v_cmp_ngt_f32_e64 s2, 0xc2ce8ed0, v4
	s_delay_alu instid0(VALU_DEP_3) | instskip(NEXT) | instid1(VALU_DEP_3)
	v_add_f32_e32 v5, v5, v26
	v_fma_f32 v28, 0x3fb8aa3b, v0, -v16
	v_rndne_f32_e32 v29, v16
	v_cvt_i32_f32_e32 v26, v27
	s_delay_alu instid0(VALU_DEP_4) | instskip(NEXT) | instid1(VALU_DEP_3)
	v_exp_f32_e32 v5, v5
	v_fmac_f32_e32 v28, 0x32a5705f, v0
	s_delay_alu instid0(VALU_DEP_3) | instskip(SKIP_1) | instid1(VALU_DEP_2)
	v_sub_f32_e32 v16, v16, v29
	v_cvt_i32_f32_e32 v27, v29
	v_add_f32_e32 v16, v16, v28
	s_waitcnt_depctr 0xfff
	v_ldexp_f32 v5, v5, v26
	v_exp_f32_e32 v16, v16
	s_delay_alu instid0(VALU_DEP_1) | instskip(SKIP_3) | instid1(VALU_DEP_1)
	v_cndmask_b32_e64 v5, 0, v5, s2
	v_cmp_ngt_f32_e64 s2, 0xc2ce8ed0, v0
	s_waitcnt_depctr 0xfff
	v_ldexp_f32 v16, v16, v27
	v_cndmask_b32_e64 v16, 0, v16, s2
	v_cmp_nlt_f32_e64 s2, 0x42b17218, v4
	s_delay_alu instid0(VALU_DEP_1) | instskip(SKIP_2) | instid1(VALU_DEP_2)
	v_cndmask_b32_e64 v4, 0x7f800000, v5, s2
	v_cmp_nlt_f32_e64 s2, 0x42b17218, v0
	v_cndmask_b32_e32 v5, v2, v3, vcc_lo
	v_cndmask_b32_e64 v0, 0x7f800000, v16, s2
	v_cmp_eq_u32_e64 s2, 0, v8
	s_delay_alu instid0(VALU_DEP_1) | instskip(SKIP_1) | instid1(VALU_DEP_2)
	v_cndmask_b32_e64 v4, 0, v4, s2
	v_cmp_eq_u32_e64 s2, 0, v12
	v_fmac_f32_e32 v4, v5, v0
	v_cvt_f16_f32_e32 v0, v0
	s_delay_alu instid0(VALU_DEP_3) | instskip(NEXT) | instid1(VALU_DEP_3)
	v_cndmask_b32_e64 v6, v6, v1, s2
	v_cndmask_b32_e32 v3, v3, v4, vcc_lo
	v_cndmask_b32_e64 v2, v2, v4, s2
	s_waitcnt vmcnt(1)
	v_pk_mul_f16 v18, v0, v18 op_sel_hi:[0,1]
	v_pk_mul_f16 v19, v0, v19 op_sel_hi:[0,1]
	;; [unrolled: 1-line block ×4, first 2 shown]
	s_waitcnt vmcnt(0)
	v_pk_mul_f16 v22, v0, v22 op_sel_hi:[0,1]
	v_pk_mul_f16 v23, v0, v23 op_sel_hi:[0,1]
	;; [unrolled: 1-line block ×4, first 2 shown]
	s_clause 0x1
	scratch_store_b128 v17, v[18:21], off
	scratch_store_b128 v17, v[22:25], off offset:16
.LBB19_50:
	s_or_b32 exec_lo, exec_lo, s3
	s_delay_alu instid0(SALU_CYCLE_1)
	s_mov_b32 s2, exec_lo
	v_cmpx_eq_u32_e32 0, v12
	s_cbranch_execz .LBB19_52
; %bb.51:
	v_mov_b32_e32 v0, 0xfeffffff
	v_dual_mov_b32 v4, 0 :: v_dual_add_nc_u32 v1, 0x1000, v9
	ds_store_2addr_b32 v1, v0, v0 offset1:32
	ds_store_2addr_b32 v1, v4, v4 offset0:64 offset1:96
.LBB19_52:
	s_or_b32 exec_lo, exec_lo, s2
	v_cmp_eq_u32_e64 s2, 0, v8
	s_waitcnt lgkmcnt(0)
	s_waitcnt_vscnt null, 0x0
	s_barrier
	buffer_gl0_inv
	s_and_saveexec_b32 s3, s2
	s_cbranch_execz .LBB19_54
; %bb.53:
	v_lshlrev_b32_e32 v0, 2, v12
	s_delay_alu instid0(VALU_DEP_1)
	v_add_nc_u32_e32 v0, 0x1000, v0
	ds_store_2addr_b32 v0, v6, v7 offset1:32
.LBB19_54:
	s_or_b32 exec_lo, exec_lo, s3
	s_delay_alu instid0(SALU_CYCLE_1)
	s_and_not1_b32 vcc_lo, exec_lo, s41
	s_waitcnt lgkmcnt(0)
	s_barrier
	buffer_gl0_inv
	s_cbranch_vccnz .LBB19_56
; %bb.55:
	s_load_b32 s3, s[0:1], 0xd4
	s_cbranch_execz .LBB19_57
	s_branch .LBB19_64
.LBB19_56:
                                        ; implicit-def: $sgpr3
.LBB19_57:
	ds_load_b32 v0, v9 offset:4096
	v_xor_b32_e32 v1, 16, v15
	s_clause 0x1
	scratch_load_b128 v[19:22], off, off
	scratch_load_b128 v[23:26], off, off offset:16
	v_xor_b32_e32 v4, 8, v15
	s_waitcnt lgkmcnt(0)
	s_load_b32 s3, s[0:1], 0xd4
	v_cmp_gt_i32_e32 vcc_lo, 32, v1
	v_cndmask_b32_e32 v1, v15, v1, vcc_lo
	v_cmp_gt_i32_e32 vcc_lo, 32, v4
	s_delay_alu instid0(VALU_DEP_2) | instskip(SKIP_4) | instid1(VALU_DEP_2)
	v_lshlrev_b32_e32 v16, 2, v1
	ds_bpermute_b32 v1, v16, v0
	v_cndmask_b32_e32 v4, v15, v4, vcc_lo
	s_waitcnt lgkmcnt(0)
	v_dual_max_f32 v0, v0, v0 :: v_dual_max_f32 v1, v1, v1
	v_lshlrev_b32_e32 v17, 2, v4
	v_xor_b32_e32 v4, 4, v15
	s_delay_alu instid0(VALU_DEP_3) | instskip(NEXT) | instid1(VALU_DEP_2)
	v_max_f32_e32 v0, v0, v1
	v_cmp_gt_i32_e32 vcc_lo, 32, v4
	ds_bpermute_b32 v1, v17, v0
	s_waitcnt lgkmcnt(0)
	v_dual_cndmask_b32 v4, v15, v4 :: v_dual_max_f32 v1, v1, v1
	s_delay_alu instid0(VALU_DEP_1) | instskip(SKIP_1) | instid1(VALU_DEP_1)
	v_lshlrev_b32_e32 v18, 2, v4
	v_xor_b32_e32 v4, 2, v15
	v_cmp_gt_i32_e32 vcc_lo, 32, v4
	v_cndmask_b32_e32 v4, v15, v4, vcc_lo
	s_delay_alu instid0(VALU_DEP_1) | instskip(SKIP_2) | instid1(VALU_DEP_1)
	v_dual_max_f32 v0, v0, v1 :: v_dual_lshlrev_b32 v5, 2, v4
	ds_bpermute_b32 v1, v18, v0
	v_xor_b32_e32 v4, 1, v15
	v_cmp_gt_i32_e32 vcc_lo, 32, v4
	v_cndmask_b32_e32 v4, v15, v4, vcc_lo
	s_waitcnt lgkmcnt(0)
	s_delay_alu instid0(VALU_DEP_1) | instskip(NEXT) | instid1(VALU_DEP_1)
	v_dual_max_f32 v1, v1, v1 :: v_dual_lshlrev_b32 v4, 2, v4
	v_max_f32_e32 v0, v0, v1
	ds_bpermute_b32 v1, v5, v0
	s_waitcnt lgkmcnt(0)
	v_max_f32_e32 v1, v1, v1
	s_delay_alu instid0(VALU_DEP_1) | instskip(SKIP_3) | instid1(VALU_DEP_1)
	v_max_f32_e32 v0, v0, v1
	ds_bpermute_b32 v1, v4, v0
	s_waitcnt lgkmcnt(0)
	v_max_f32_e32 v1, v1, v1
	v_max_f32_e32 v0, v0, v1
	s_delay_alu instid0(VALU_DEP_1) | instskip(NEXT) | instid1(VALU_DEP_1)
	v_sub_f32_e32 v1, v6, v0
	v_mul_f32_e32 v6, 0x3fb8aa3b, v1
	v_cmp_ngt_f32_e32 vcc_lo, 0xc2ce8ed0, v1
	s_delay_alu instid0(VALU_DEP_2) | instskip(SKIP_1) | instid1(VALU_DEP_1)
	v_fma_f32 v15, 0x3fb8aa3b, v1, -v6
	v_rndne_f32_e32 v27, v6
	v_dual_fmamk_f32 v15, v1, 0x32a5705f, v15 :: v_dual_sub_f32 v6, v6, v27
	s_delay_alu instid0(VALU_DEP_1) | instskip(SKIP_1) | instid1(VALU_DEP_2)
	v_add_f32_e32 v6, v6, v15
	v_cvt_i32_f32_e32 v15, v27
	v_exp_f32_e32 v6, v6
	s_waitcnt_depctr 0xfff
	v_ldexp_f32 v6, v6, v15
	s_delay_alu instid0(VALU_DEP_1) | instskip(NEXT) | instid1(VALU_DEP_1)
	v_dual_cndmask_b32 v6, 0, v6 :: v_dual_lshlrev_b32 v15, 5, v8
	v_and_b32_e32 v15, 0xf00, v15
	v_cmp_nlt_f32_e32 vcc_lo, 0x42b17218, v1
	s_delay_alu instid0(VALU_DEP_2) | instskip(NEXT) | instid1(VALU_DEP_4)
	v_lshl_add_u32 v15, v12, 10, v15
	v_cndmask_b32_e32 v6, 0x7f800000, v6, vcc_lo
	s_delay_alu instid0(VALU_DEP_1)
	v_mul_f32_e32 v1, v2, v6
	ds_bpermute_b32 v1, v16, v1
	s_waitcnt lgkmcnt(0)
	v_fmac_f32_e32 v1, v2, v6
	v_cvt_f16_f32_e32 v6, v6
	ds_bpermute_b32 v2, v17, v1
	s_waitcnt lgkmcnt(0)
	v_add_f32_e32 v1, v1, v2
	ds_bpermute_b32 v2, v18, v1
	s_waitcnt lgkmcnt(0)
	v_add_f32_e32 v1, v1, v2
	ds_bpermute_b32 v2, v5, v1
	s_waitcnt vmcnt(1)
	v_pk_mul_f16 v19, v6, v19 op_sel_hi:[0,1]
	v_pk_mul_f16 v20, v6, v20 op_sel_hi:[0,1]
	;; [unrolled: 1-line block ×4, first 2 shown]
	s_waitcnt vmcnt(0)
	v_pk_mul_f16 v23, v6, v23 op_sel_hi:[0,1]
	v_pk_mul_f16 v24, v6, v24 op_sel_hi:[0,1]
	;; [unrolled: 1-line block ×4, first 2 shown]
	v_lshl_or_b32 v6, v14, 2, v15
	s_clause 0x1
	scratch_store_b128 off, v[19:22], off
	scratch_store_b128 off, v[23:26], off offset:16
	s_waitcnt lgkmcnt(0)
	v_add_f32_e32 v1, v1, v2
	ds_store_b128 v6, v[19:22]
	ds_store_b128 v6, v[23:26] offset:128
	ds_bpermute_b32 v2, v4, v1
	s_and_saveexec_b32 s0, s2
	s_cbranch_execz .LBB19_59
; %bb.58:
	s_waitcnt lgkmcnt(0)
	v_dual_add_f32 v1, v1, v2 :: v_dual_lshlrev_b32 v2, 2, v12
	ds_store_b32 v2, v1 offset:4352
.LBB19_59:
	s_or_b32 exec_lo, exec_lo, s0
	s_waitcnt lgkmcnt(0)
	s_waitcnt_vscnt null, 0x0
	s_barrier
	buffer_gl0_inv
	ds_load_b32 v1, v9 offset:4352
	ds_load_u16 v2, v11
	ds_load_u16 v14, v11 offset:256
	ds_load_u16 v15, v11 offset:512
	;; [unrolled: 1-line block ×6, first 2 shown]
	s_cmp_eq_u32 s3, 1
	s_mul_i32 s1, s33, s34
	s_cselect_b32 s0, -1, 0
	s_add_i32 s1, s1, s15
	s_delay_alu instid0(SALU_CYCLE_1) | instskip(NEXT) | instid1(SALU_CYCLE_1)
	s_mul_i32 s4, s1, s35
	s_add_i32 s4, s4, s12
	s_delay_alu instid0(SALU_CYCLE_1) | instskip(NEXT) | instid1(SALU_CYCLE_1)
	s_mul_i32 s1, s3, s4
	s_add_i32 s1, s1, s14
	s_waitcnt lgkmcnt(7)
	ds_bpermute_b32 v23, v16, v1
	s_waitcnt lgkmcnt(7)
	v_cvt_f32_f16_e32 v2, v2
	s_waitcnt lgkmcnt(6)
	v_cvt_f32_f16_e32 v14, v14
	s_waitcnt lgkmcnt(5)
	v_cvt_f32_f16_e32 v15, v15
	s_waitcnt lgkmcnt(4)
	v_cvt_f32_f16_e32 v19, v19
	s_waitcnt lgkmcnt(3)
	v_cvt_f32_f16_e32 v20, v20
	s_waitcnt lgkmcnt(2)
	v_cvt_f32_f16_e32 v21, v21
	s_waitcnt lgkmcnt(1)
	v_cvt_f32_f16_e32 v22, v22
	v_add_f32_e32 v2, 0, v2
	s_waitcnt lgkmcnt(0)
	s_delay_alu instid0(VALU_DEP_1)
	v_dual_add_f32 v2, v2, v14 :: v_dual_add_f32 v1, v1, v23
	ds_bpermute_b32 v23, v17, v1
	s_waitcnt lgkmcnt(0)
	v_add_f32_e32 v1, v1, v23
	ds_bpermute_b32 v14, v18, v1
	v_add_f32_e32 v2, v2, v15
	ds_load_u16 v15, v11 offset:1792
	s_waitcnt lgkmcnt(1)
	v_dual_add_f32 v1, v1, v14 :: v_dual_add_f32 v2, v2, v19
	ds_load_u16 v19, v11 offset:2048
	v_add_f32_e32 v2, v2, v20
	ds_load_u16 v20, v11 offset:2304
	s_waitcnt lgkmcnt(2)
	v_cvt_f32_f16_e32 v15, v15
	v_add_f32_e32 v2, v2, v21
	ds_load_u16 v14, v11 offset:2560
	ds_load_u16 v21, v11 offset:2816
	;; [unrolled: 1-line block ×5, first 2 shown]
	v_add_f32_e32 v2, v2, v22
	ds_bpermute_b32 v22, v5, v1
	v_add_f32_e32 v2, v2, v15
	s_waitcnt lgkmcnt(7)
	v_cvt_f32_f16_e32 v19, v19
	s_waitcnt lgkmcnt(6)
	v_cvt_f32_f16_e32 v15, v20
	s_delay_alu instid0(VALU_DEP_2)
	v_add_f32_e32 v2, v2, v19
	s_waitcnt lgkmcnt(5)
	v_cvt_f32_f16_e32 v14, v14
	s_waitcnt lgkmcnt(4)
	v_cvt_f32_f16_e32 v19, v21
	;; [unrolled: 2-line block ×3, first 2 shown]
	v_add_f32_e32 v2, v2, v15
	ds_load_u16 v15, v11 offset:3840
	s_waitcnt lgkmcnt(1)
	v_add_f32_e32 v1, v1, v22
	v_add_f32_e32 v2, v2, v14
	v_cvt_f32_f16_e32 v14, v23
	s_delay_alu instid0(VALU_DEP_2) | instskip(SKIP_3) | instid1(VALU_DEP_2)
	v_add_f32_e32 v2, v2, v19
	ds_bpermute_b32 v19, v4, v1
	v_add_f32_e32 v2, v2, v14
	v_cvt_f32_f16_e32 v14, v25
	v_add_f32_e32 v2, v2, v20
	s_waitcnt lgkmcnt(1)
	v_cvt_f32_f16_e32 v15, v15
	s_delay_alu instid0(VALU_DEP_2) | instskip(NEXT) | instid1(VALU_DEP_1)
	v_add_f32_e32 v2, v2, v14
	v_add_f32_e32 v20, v2, v15
	s_waitcnt lgkmcnt(0)
	v_add_f32_e32 v2, v1, v19
	s_delay_alu instid0(VALU_DEP_1) | instskip(SKIP_1) | instid1(VALU_DEP_2)
	v_div_scale_f32 v1, null, v2, v2, v20
	v_div_scale_f32 v19, vcc_lo, v20, v2, v20
	v_rcp_f32_e32 v14, v1
	s_waitcnt_depctr 0xfff
	v_fma_f32 v15, -v1, v14, 1.0
	s_delay_alu instid0(VALU_DEP_1) | instskip(NEXT) | instid1(VALU_DEP_1)
	v_fmac_f32_e32 v14, v15, v14
	v_mul_f32_e32 v15, v19, v14
	s_delay_alu instid0(VALU_DEP_1) | instskip(NEXT) | instid1(VALU_DEP_1)
	v_fma_f32 v21, -v1, v15, v19
	v_fmac_f32_e32 v15, v21, v14
	s_delay_alu instid0(VALU_DEP_1) | instskip(NEXT) | instid1(VALU_DEP_1)
	v_fma_f32 v1, -v1, v15, v19
	v_div_fmas_f32 v1, v1, v14, v15
	v_mov_b32_e32 v15, 0
	v_lshl_or_b32 v14, s1, 7, v10
	v_cmp_ne_u32_e32 vcc_lo, 1, v13
	s_delay_alu instid0(VALU_DEP_4) | instskip(NEXT) | instid1(VALU_DEP_3)
	v_div_fixup_f32 v1, v1, v2, v20
	v_lshlrev_b64 v[14:15], 2, v[14:15]
	s_and_b32 vcc_lo, exec_lo, vcc_lo
	s_delay_alu instid0(VALU_DEP_2) | instskip(SKIP_1) | instid1(VALU_DEP_3)
	v_cndmask_b32_e64 v19, v20, v1, s0
	v_mov_b32_e32 v1, v7
	v_add_co_u32 v13, s1, s28, v14
	s_delay_alu instid0(VALU_DEP_1)
	v_add_co_ci_u32_e64 v14, s1, s29, v15, s1
	global_store_b32 v[13:14], v19, off
	s_waitcnt_vscnt null, 0x0
	s_barrier
	buffer_gl0_inv
	s_cbranch_vccnz .LBB19_63
; %bb.60:
	v_or_b32_e32 v1, 0x1000, v9
	ds_load_b32 v1, v1 offset:128
	s_clause 0x1
	scratch_load_b128 v[19:22], off, off offset:32
	scratch_load_b128 v[23:26], off, off offset:48
	s_waitcnt lgkmcnt(0)
	ds_bpermute_b32 v13, v16, v1
	v_max_f32_e32 v1, v1, v1
	s_waitcnt lgkmcnt(0)
	v_max_f32_e32 v13, v13, v13
	s_delay_alu instid0(VALU_DEP_1) | instskip(SKIP_3) | instid1(VALU_DEP_1)
	v_max_f32_e32 v1, v1, v13
	ds_bpermute_b32 v13, v17, v1
	s_waitcnt lgkmcnt(0)
	v_max_f32_e32 v13, v13, v13
	v_max_f32_e32 v1, v1, v13
	ds_bpermute_b32 v13, v18, v1
	s_waitcnt lgkmcnt(0)
	v_max_f32_e32 v13, v13, v13
	s_delay_alu instid0(VALU_DEP_1) | instskip(SKIP_3) | instid1(VALU_DEP_1)
	v_max_f32_e32 v1, v1, v13
	ds_bpermute_b32 v13, v5, v1
	s_waitcnt lgkmcnt(0)
	v_max_f32_e32 v13, v13, v13
	v_max_f32_e32 v1, v1, v13
	ds_bpermute_b32 v13, v4, v1
	s_waitcnt lgkmcnt(0)
	v_max_f32_e32 v13, v13, v13
	s_delay_alu instid0(VALU_DEP_1) | instskip(NEXT) | instid1(VALU_DEP_1)
	v_max_f32_e32 v1, v1, v13
	v_sub_f32_e32 v7, v7, v1
	s_delay_alu instid0(VALU_DEP_1) | instskip(SKIP_1) | instid1(VALU_DEP_2)
	v_mul_f32_e32 v13, 0x3fb8aa3b, v7
	v_cmp_ngt_f32_e32 vcc_lo, 0xc2ce8ed0, v7
	v_fma_f32 v14, 0x3fb8aa3b, v7, -v13
	v_rndne_f32_e32 v15, v13
	s_delay_alu instid0(VALU_DEP_1) | instskip(NEXT) | instid1(VALU_DEP_1)
	v_dual_fmamk_f32 v14, v7, 0x32a5705f, v14 :: v_dual_sub_f32 v13, v13, v15
	v_add_f32_e32 v13, v13, v14
	v_cvt_i32_f32_e32 v14, v15
	s_delay_alu instid0(VALU_DEP_2) | instskip(SKIP_3) | instid1(VALU_DEP_2)
	v_exp_f32_e32 v13, v13
	s_waitcnt_depctr 0xfff
	v_ldexp_f32 v13, v13, v14
	v_or_b32_e32 v14, 0x80, v6
	v_cndmask_b32_e32 v13, 0, v13, vcc_lo
	v_cmp_nlt_f32_e32 vcc_lo, 0x42b17218, v7
	s_delay_alu instid0(VALU_DEP_2) | instskip(NEXT) | instid1(VALU_DEP_1)
	v_cndmask_b32_e32 v13, 0x7f800000, v13, vcc_lo
	v_mul_f32_e32 v7, v3, v13
	ds_bpermute_b32 v7, v16, v7
	s_waitcnt lgkmcnt(0)
	v_fmac_f32_e32 v7, v3, v13
	ds_bpermute_b32 v3, v17, v7
	s_waitcnt lgkmcnt(0)
	v_add_f32_e32 v3, v7, v3
	ds_bpermute_b32 v7, v18, v3
	s_waitcnt lgkmcnt(0)
	v_add_f32_e32 v3, v3, v7
	;; [unrolled: 3-line block ×3, first 2 shown]
	v_cvt_f16_f32_e32 v3, v13
	ds_bpermute_b32 v13, v4, v7
	s_waitcnt vmcnt(1)
	v_pk_mul_f16 v19, v3, v19 op_sel_hi:[0,1]
	v_pk_mul_f16 v20, v3, v20 op_sel_hi:[0,1]
	;; [unrolled: 1-line block ×4, first 2 shown]
	s_waitcnt vmcnt(0)
	v_pk_mul_f16 v23, v3, v23 op_sel_hi:[0,1]
	v_pk_mul_f16 v24, v3, v24 op_sel_hi:[0,1]
	;; [unrolled: 1-line block ×4, first 2 shown]
	v_add_nc_u32_e32 v3, 0x1100, v9
	s_clause 0x1
	scratch_store_b128 off, v[19:22], off offset:32
	scratch_store_b128 off, v[23:26], off offset:48
	ds_store_b128 v6, v[19:22]
	ds_store_b128 v14, v[23:26]
	s_and_saveexec_b32 s1, s2
	s_cbranch_execz .LBB19_62
; %bb.61:
	s_waitcnt lgkmcnt(2)
	v_dual_add_f32 v7, v7, v13 :: v_dual_lshlrev_b32 v6, 2, v12
	ds_store_b32 v6, v7 offset:4480
.LBB19_62:
	s_or_b32 exec_lo, exec_lo, s1
	s_waitcnt lgkmcnt(0)
	s_waitcnt_vscnt null, 0x0
	s_barrier
	buffer_gl0_inv
	ds_load_b32 v3, v3 offset:128
	ds_load_u16 v6, v11
	ds_load_u16 v7, v11 offset:256
	ds_load_u16 v9, v11 offset:512
	;; [unrolled: 1-line block ×6, first 2 shown]
	s_add_i32 s4, s4, s35
	s_delay_alu instid0(SALU_CYCLE_1) | instskip(NEXT) | instid1(SALU_CYCLE_1)
	s_mul_i32 s1, s3, s4
	s_add_i32 s1, s1, s14
	s_waitcnt lgkmcnt(7)
	ds_bpermute_b32 v16, v16, v3
	s_waitcnt lgkmcnt(7)
	v_cvt_f32_f16_e32 v6, v6
	s_waitcnt lgkmcnt(6)
	v_cvt_f32_f16_e32 v7, v7
	;; [unrolled: 2-line block ×7, first 2 shown]
	v_add_f32_e32 v6, 0, v6
	s_waitcnt lgkmcnt(0)
	s_delay_alu instid0(VALU_DEP_1)
	v_dual_add_f32 v6, v6, v7 :: v_dual_add_f32 v3, v3, v16
	ds_bpermute_b32 v16, v17, v3
	s_waitcnt lgkmcnt(0)
	v_add_f32_e32 v3, v3, v16
	ds_bpermute_b32 v7, v18, v3
	v_add_f32_e32 v6, v6, v9
	ds_load_u16 v9, v11 offset:1792
	s_waitcnt lgkmcnt(1)
	v_add_f32_e32 v3, v3, v7
	ds_bpermute_b32 v5, v5, v3
	v_add_f32_e32 v6, v6, v12
	ds_load_u16 v12, v11 offset:2048
	s_waitcnt lgkmcnt(1)
	v_add_f32_e32 v3, v3, v5
	v_add_f32_e32 v6, v6, v13
	ds_load_u16 v13, v11 offset:2304
	v_cvt_f32_f16_e32 v9, v9
	s_waitcnt lgkmcnt(1)
	v_cvt_f32_f16_e32 v12, v12
	ds_bpermute_b32 v4, v4, v3
	v_add_f32_e32 v6, v6, v14
	ds_load_u16 v7, v11 offset:2560
	ds_load_u16 v14, v11 offset:2816
	;; [unrolled: 1-line block ×5, first 2 shown]
	s_waitcnt lgkmcnt(4)
	v_cvt_f32_f16_e32 v7, v7
	v_dual_add_f32 v3, v3, v4 :: v_dual_add_f32 v6, v6, v15
	s_waitcnt lgkmcnt(2)
	v_cvt_f32_f16_e32 v5, v16
	s_delay_alu instid0(VALU_DEP_2) | instskip(SKIP_1) | instid1(VALU_DEP_2)
	v_add_f32_e32 v6, v6, v9
	v_cvt_f32_f16_e32 v9, v13
	v_add_f32_e32 v6, v6, v12
	s_delay_alu instid0(VALU_DEP_1)
	v_add_f32_e32 v6, v6, v9
	ds_load_u16 v9, v11 offset:3840
	v_cvt_f32_f16_e32 v11, v14
	v_add_f32_e32 v6, v6, v7
	s_waitcnt lgkmcnt(2)
	v_cvt_f32_f16_e32 v7, v17
	s_delay_alu instid0(VALU_DEP_2) | instskip(NEXT) | instid1(VALU_DEP_1)
	v_add_f32_e32 v6, v6, v11
	v_add_f32_e32 v5, v6, v5
	s_waitcnt lgkmcnt(1)
	v_cvt_f32_f16_e32 v6, v18
	s_delay_alu instid0(VALU_DEP_2) | instskip(SKIP_2) | instid1(VALU_DEP_2)
	v_add_f32_e32 v5, v5, v7
	s_waitcnt lgkmcnt(0)
	v_cvt_f32_f16_e32 v7, v9
	v_add_f32_e32 v5, v5, v6
	s_delay_alu instid0(VALU_DEP_1) | instskip(NEXT) | instid1(VALU_DEP_1)
	v_add_f32_e32 v6, v5, v7
	v_div_scale_f32 v5, null, v3, v3, v6
	v_div_scale_f32 v9, vcc_lo, v6, v3, v6
	s_delay_alu instid0(VALU_DEP_2) | instskip(SKIP_2) | instid1(VALU_DEP_1)
	v_rcp_f32_e32 v7, v5
	s_waitcnt_depctr 0xfff
	v_fma_f32 v4, -v5, v7, 1.0
	v_fmac_f32_e32 v7, v4, v7
	s_delay_alu instid0(VALU_DEP_1) | instskip(NEXT) | instid1(VALU_DEP_1)
	v_mul_f32_e32 v11, v9, v7
	v_fma_f32 v4, -v5, v11, v9
	s_delay_alu instid0(VALU_DEP_1) | instskip(SKIP_1) | instid1(VALU_DEP_2)
	v_fmac_f32_e32 v11, v4, v7
	v_lshl_or_b32 v4, s1, 7, v10
	v_fma_f32 v9, -v5, v11, v9
	v_mov_b32_e32 v5, 0
	s_delay_alu instid0(VALU_DEP_2) | instskip(NEXT) | instid1(VALU_DEP_2)
	v_div_fmas_f32 v7, v9, v7, v11
	v_lshlrev_b64 v[4:5], 2, v[4:5]
	s_delay_alu instid0(VALU_DEP_2) | instskip(NEXT) | instid1(VALU_DEP_2)
	v_div_fixup_f32 v7, v7, v3, v6
	v_add_co_u32 v4, vcc_lo, s28, v4
	s_delay_alu instid0(VALU_DEP_3) | instskip(NEXT) | instid1(VALU_DEP_3)
	v_add_co_ci_u32_e32 v5, vcc_lo, s29, v5, vcc_lo
	v_cndmask_b32_e64 v6, v6, v7, s0
	global_store_b32 v[4:5], v6, off
.LBB19_63:
	v_dual_mov_b32 v7, v1 :: v_dual_mov_b32 v6, v0
.LBB19_64:
	v_or_b32_e32 v0, s15, v8
	v_cmp_gt_u32_e32 vcc_lo, 2, v10
	s_waitcnt lgkmcnt(0)
	s_cmp_lg_u32 s3, 1
	s_cselect_b32 s1, -1, 0
	v_cmp_gt_i32_e64 s0, s34, v0
	s_and_b32 s1, vcc_lo, s1
	s_delay_alu instid0(VALU_DEP_1) | instid1(SALU_CYCLE_1)
	s_and_b32 s0, s1, s0
	s_delay_alu instid0(SALU_CYCLE_1)
	s_and_saveexec_b32 s1, s0
	s_cbranch_execz .LBB19_66
; %bb.65:
	v_mad_u64_u32 v[4:5], null, s33, s34, v[0:1]
	v_cmp_eq_u32_e32 vcc_lo, 1, v10
	s_delay_alu instid0(VALU_DEP_2) | instskip(NEXT) | instid1(VALU_DEP_1)
	v_mad_u64_u32 v[0:1], null, v4, s35, s[12:13]
	v_mad_u64_u32 v[4:5], null, s3, v0, s[14:15]
	v_mov_b32_e32 v5, 0
	s_delay_alu instid0(VALU_DEP_1) | instskip(SKIP_2) | instid1(VALU_DEP_3)
	v_lshlrev_b64 v[0:1], 3, v[4:5]
	v_cndmask_b32_e32 v4, v6, v7, vcc_lo
	v_cndmask_b32_e32 v5, v2, v3, vcc_lo
	v_add_co_u32 v0, vcc_lo, s30, v0
	s_delay_alu instid0(VALU_DEP_4)
	v_add_co_ci_u32_e32 v1, vcc_lo, s31, v1, vcc_lo
	global_store_b64 v[0:1], v[4:5], off
.LBB19_66:
	s_nop 0
	s_sendmsg sendmsg(MSG_DEALLOC_VGPRS)
	s_endpgm
	.section	.rodata,"a",@progbits
	.p2align	6, 0x0
	.amdhsa_kernel _ZL18flash_attn_ext_vecILi128ELi2EL9ggml_type30ELS0_1ELb0EEvPKcS2_S2_S2_S2_PKiPfP15HIP_vector_typeIfLj2EEffffjfiS6_IjLj3EEiiiiiiiiiiiliiliiiiil
		.amdhsa_group_segment_fixed_size 4608
		.amdhsa_private_segment_fixed_size 80
		.amdhsa_kernarg_size 464
		.amdhsa_user_sgpr_count 13
		.amdhsa_user_sgpr_dispatch_ptr 0
		.amdhsa_user_sgpr_queue_ptr 0
		.amdhsa_user_sgpr_kernarg_segment_ptr 1
		.amdhsa_user_sgpr_dispatch_id 0
		.amdhsa_user_sgpr_private_segment_size 0
		.amdhsa_wavefront_size32 1
		.amdhsa_uses_dynamic_stack 0
		.amdhsa_enable_private_segment 1
		.amdhsa_system_sgpr_workgroup_id_x 1
		.amdhsa_system_sgpr_workgroup_id_y 1
		.amdhsa_system_sgpr_workgroup_id_z 1
		.amdhsa_system_sgpr_workgroup_info 0
		.amdhsa_system_vgpr_workitem_id 1
		.amdhsa_next_free_vgpr 199
		.amdhsa_next_free_sgpr 52
		.amdhsa_reserve_vcc 1
		.amdhsa_float_round_mode_32 0
		.amdhsa_float_round_mode_16_64 0
		.amdhsa_float_denorm_mode_32 3
		.amdhsa_float_denorm_mode_16_64 3
		.amdhsa_dx10_clamp 1
		.amdhsa_ieee_mode 1
		.amdhsa_fp16_overflow 0
		.amdhsa_workgroup_processor_mode 1
		.amdhsa_memory_ordered 1
		.amdhsa_forward_progress 0
		.amdhsa_shared_vgpr_count 0
		.amdhsa_exception_fp_ieee_invalid_op 0
		.amdhsa_exception_fp_denorm_src 0
		.amdhsa_exception_fp_ieee_div_zero 0
		.amdhsa_exception_fp_ieee_overflow 0
		.amdhsa_exception_fp_ieee_underflow 0
		.amdhsa_exception_fp_ieee_inexact 0
		.amdhsa_exception_int_div_zero 0
	.end_amdhsa_kernel
	.section	.text._ZL18flash_attn_ext_vecILi128ELi2EL9ggml_type30ELS0_1ELb0EEvPKcS2_S2_S2_S2_PKiPfP15HIP_vector_typeIfLj2EEffffjfiS6_IjLj3EEiiiiiiiiiiiliiliiiiil,"axG",@progbits,_ZL18flash_attn_ext_vecILi128ELi2EL9ggml_type30ELS0_1ELb0EEvPKcS2_S2_S2_S2_PKiPfP15HIP_vector_typeIfLj2EEffffjfiS6_IjLj3EEiiiiiiiiiiiliiliiiiil,comdat
.Lfunc_end19:
	.size	_ZL18flash_attn_ext_vecILi128ELi2EL9ggml_type30ELS0_1ELb0EEvPKcS2_S2_S2_S2_PKiPfP15HIP_vector_typeIfLj2EEffffjfiS6_IjLj3EEiiiiiiiiiiiliiliiiiil, .Lfunc_end19-_ZL18flash_attn_ext_vecILi128ELi2EL9ggml_type30ELS0_1ELb0EEvPKcS2_S2_S2_S2_PKiPfP15HIP_vector_typeIfLj2EEffffjfiS6_IjLj3EEiiiiiiiiiiiliiliiiiil
                                        ; -- End function
	.section	.AMDGPU.csdata,"",@progbits
; Kernel info:
; codeLenInByte = 13676
; NumSgprs: 54
; NumVgprs: 199
; ScratchSize: 80
; MemoryBound: 0
; FloatMode: 240
; IeeeMode: 1
; LDSByteSize: 4608 bytes/workgroup (compile time only)
; SGPRBlocks: 6
; VGPRBlocks: 24
; NumSGPRsForWavesPerEU: 54
; NumVGPRsForWavesPerEU: 199
; Occupancy: 7
; WaveLimiterHint : 1
; COMPUTE_PGM_RSRC2:SCRATCH_EN: 1
; COMPUTE_PGM_RSRC2:USER_SGPR: 13
; COMPUTE_PGM_RSRC2:TRAP_HANDLER: 0
; COMPUTE_PGM_RSRC2:TGID_X_EN: 1
; COMPUTE_PGM_RSRC2:TGID_Y_EN: 1
; COMPUTE_PGM_RSRC2:TGID_Z_EN: 1
; COMPUTE_PGM_RSRC2:TIDIG_COMP_CNT: 1
	.section	.text._ZL33flash_attn_stream_k_fixup_uniformILi128ELi2ELi1EEvPfPK15HIP_vector_typeIfLj2EEiiiiiiS1_IjLj3EES5_S5_,"axG",@progbits,_ZL33flash_attn_stream_k_fixup_uniformILi128ELi2ELi1EEvPfPK15HIP_vector_typeIfLj2EEiiiiiiS1_IjLj3EES5_S5_,comdat
	.globl	_ZL33flash_attn_stream_k_fixup_uniformILi128ELi2ELi1EEvPfPK15HIP_vector_typeIfLj2EEiiiiiiS1_IjLj3EES5_S5_ ; -- Begin function _ZL33flash_attn_stream_k_fixup_uniformILi128ELi2ELi1EEvPfPK15HIP_vector_typeIfLj2EEiiiiiiS1_IjLj3EES5_S5_
	.p2align	8
	.type	_ZL33flash_attn_stream_k_fixup_uniformILi128ELi2ELi1EEvPfPK15HIP_vector_typeIfLj2EEiiiiiiS1_IjLj3EES5_S5_,@function
_ZL33flash_attn_stream_k_fixup_uniformILi128ELi2ELi1EEvPfPK15HIP_vector_typeIfLj2EEiiiiiiS1_IjLj3EES5_S5_: ; @_ZL33flash_attn_stream_k_fixup_uniformILi128ELi2ELi1EEvPfPK15HIP_vector_typeIfLj2EEiiiiiiS1_IjLj3EES5_S5_
; %bb.0:
	s_clause 0x1
	s_load_b256 s[4:11], s[0:1], 0x1c
	s_load_b128 s[16:19], s[0:1], 0x3c
	s_waitcnt lgkmcnt(0)
	s_mul_hi_u32 s2, s7, s13
	s_delay_alu instid0(SALU_CYCLE_1) | instskip(NEXT) | instid1(SALU_CYCLE_1)
	s_add_i32 s2, s13, s2
	s_lshr_b32 s2, s2, s8
	s_delay_alu instid0(SALU_CYCLE_1) | instskip(SKIP_2) | instid1(SALU_CYCLE_1)
	s_mul_i32 s3, s2, s9
	s_load_b64 s[8:9], s[0:1], 0x10
	s_sub_i32 s7, s13, s3
	s_mul_hi_u32 s3, s7, s10
	s_delay_alu instid0(SALU_CYCLE_1) | instskip(NEXT) | instid1(SALU_CYCLE_1)
	s_add_i32 s3, s7, s3
	s_lshr_b32 s3, s3, s11
	s_delay_alu instid0(SALU_CYCLE_1) | instskip(NEXT) | instid1(SALU_CYCLE_1)
	s_mul_i32 s10, s3, s16
	s_sub_i32 s10, s7, s10
	s_delay_alu instid0(SALU_CYCLE_1) | instskip(NEXT) | instid1(SALU_CYCLE_1)
	s_mul_hi_u32 s7, s10, s17
	s_add_i32 s7, s10, s7
	s_delay_alu instid0(SALU_CYCLE_1) | instskip(NEXT) | instid1(SALU_CYCLE_1)
	s_lshr_b32 s7, s7, s18
	s_mul_i32 s11, s7, s19
	s_delay_alu instid0(SALU_CYCLE_1) | instskip(NEXT) | instid1(SALU_CYCLE_1)
	s_sub_i32 s10, s10, s11
	s_lshl_b32 s11, s10, 1
	s_delay_alu instid0(SALU_CYCLE_1) | instskip(SKIP_4) | instid1(SALU_CYCLE_1)
	s_add_i32 s11, s11, s14
	s_waitcnt lgkmcnt(0)
	s_cmp_lt_i32 s11, s8
	s_cselect_b32 s11, -1, 0
	s_add_i32 s12, s7, s15
	s_cmp_lt_i32 s12, s5
	s_cselect_b32 s12, -1, 0
	s_delay_alu instid0(SALU_CYCLE_1) | instskip(NEXT) | instid1(SALU_CYCLE_1)
	s_and_b32 s11, s11, s12
	s_and_not1_b32 vcc_lo, exec_lo, s11
	s_cbranch_vccnz .LBB20_6
; %bb.1:
	s_mul_i32 s2, s2, s8
	s_mul_i32 s5, s3, s5
	s_add_i32 s2, s2, s14
	s_delay_alu instid0(SALU_CYCLE_1) | instskip(NEXT) | instid1(SALU_CYCLE_1)
	s_mul_i32 s2, s2, s9
	s_add_i32 s8, s2, s15
	s_load_b128 s[0:3], s[0:1], 0x0
	s_add_i32 s5, s8, s5
	s_mul_i32 s8, s9, s10
	s_add_i32 s5, s5, s7
	s_lshl_b32 s7, s8, 8
	s_lshl_b32 s5, s5, 7
	s_add_i32 s10, s14, s15
	s_add_i32 s7, s7, s5
	s_mul_i32 s5, s13, s6
	v_or_b32_e32 v1, s7, v0
	s_add_i32 s9, s5, s6
	s_delay_alu instid0(VALU_DEP_1) | instskip(NEXT) | instid1(VALU_DEP_1)
	v_ashrrev_i32_e32 v2, 31, v1
	v_lshlrev_b64 v[1:2], 2, v[1:2]
	s_waitcnt lgkmcnt(0)
	s_delay_alu instid0(VALU_DEP_1) | instskip(NEXT) | instid1(VALU_DEP_2)
	v_add_co_u32 v1, vcc_lo, s0, v1
	v_add_co_ci_u32_e32 v2, vcc_lo, s1, v2, vcc_lo
	s_lshl_b32 s0, s9, 1
	s_delay_alu instid0(SALU_CYCLE_1) | instskip(SKIP_2) | instid1(SALU_CYCLE_1)
	s_add_i32 s0, s10, s0
	global_load_b32 v5, v[1:2], off
	s_add_i32 s0, s0, -2
	s_ashr_i32 s1, s0, 31
	s_delay_alu instid0(SALU_CYCLE_1) | instskip(NEXT) | instid1(SALU_CYCLE_1)
	s_lshl_b64 s[0:1], s[0:1], 3
	s_add_u32 s0, s2, s0
	s_addc_u32 s1, s3, s1
	s_add_i32 s7, s9, -2
	s_load_b32 s11, s[0:1], 0x4
	s_cmp_lt_i32 s7, s5
	s_cbranch_scc1 .LBB20_4
; %bb.2:
	s_lshl_b32 s14, s4, 3
	s_load_b32 s12, s[0:1], 0x0
	s_ashr_i32 s15, s14, 31
	s_delay_alu instid0(SALU_CYCLE_1) | instskip(NEXT) | instid1(SALU_CYCLE_1)
	s_lshl_b64 s[0:1], s[14:15], 2
	s_add_u32 s7, s2, s0
	s_addc_u32 s8, s3, s1
	s_add_i32 s13, s13, 1
	s_lshl_b32 s1, s10, 7
	s_mul_i32 s0, s6, s13
	s_delay_alu instid0(SALU_CYCLE_1)
	s_lshl_b32 s6, s0, 8
	s_lshl_b32 s0, s0, 1
	s_add_i32 s1, s1, s6
	s_add_i32 s0, s10, s0
	v_or_b32_e32 v0, s1, v0
	s_lshl_b32 s1, s4, 1
	s_waitcnt lgkmcnt(0)
	v_mov_b32_e32 v6, s11
	s_add_i32 s0, s0, s1
	s_add_i32 s4, s9, -1
	v_dual_mov_b32 v0, s12 :: v_dual_add_nc_u32 v3, 0xfffffe00, v0
	s_add_i32 s0, s0, -4
.LBB20_3:                               ; =>This Inner Loop Header: Depth=1
	s_delay_alu instid0(VALU_DEP_1) | instskip(SKIP_1) | instid1(SALU_CYCLE_1)
	v_ashrrev_i32_e32 v4, 31, v3
	s_ashr_i32 s1, s0, 31
	s_lshl_b64 s[10:11], s[0:1], 3
	s_delay_alu instid0(SALU_CYCLE_1) | instskip(NEXT) | instid1(VALU_DEP_1)
	s_add_u32 s10, s2, s10
	v_lshlrev_b64 v[7:8], 2, v[3:4]
	s_addc_u32 s11, s3, s11
	s_add_i32 s4, s4, -1
	s_add_i32 s0, s0, -2
	s_cmp_le_i32 s4, s5
	s_load_b64 s[10:11], s[10:11], 0x0
	v_add_co_u32 v7, vcc_lo, s7, v7
	v_add_co_ci_u32_e32 v8, vcc_lo, s8, v8, vcc_lo
	global_load_b32 v4, v[7:8], off
	v_max_f32_e32 v7, v0, v0
	s_waitcnt lgkmcnt(0)
	v_max_f32_e64 v8, s10, s10
	s_delay_alu instid0(VALU_DEP_1) | instskip(NEXT) | instid1(VALU_DEP_1)
	v_max_f32_e32 v7, v7, v8
	v_sub_f32_e32 v8, s10, v7
	s_delay_alu instid0(VALU_DEP_1) | instskip(NEXT) | instid1(VALU_DEP_1)
	v_dual_sub_f32 v0, v0, v7 :: v_dual_mul_f32 v9, 0x3fb8aa3b, v8
	v_fma_f32 v10, 0x3fb8aa3b, v8, -v9
	v_rndne_f32_e32 v11, v9
	s_delay_alu instid0(VALU_DEP_3) | instskip(NEXT) | instid1(VALU_DEP_2)
	v_mul_f32_e32 v12, 0x3fb8aa3b, v0
	v_dual_fmac_f32 v10, 0x32a5705f, v8 :: v_dual_sub_f32 v9, v9, v11
	v_cvt_i32_f32_e32 v11, v11
	s_delay_alu instid0(VALU_DEP_3) | instskip(SKIP_1) | instid1(VALU_DEP_4)
	v_fma_f32 v13, 0x3fb8aa3b, v0, -v12
	v_rndne_f32_e32 v14, v12
	v_add_f32_e32 v9, v9, v10
	v_cmp_ngt_f32_e32 vcc_lo, 0xc2ce8ed0, v8
	s_delay_alu instid0(VALU_DEP_3) | instskip(NEXT) | instid1(VALU_DEP_3)
	v_sub_f32_e32 v10, v12, v14
	v_exp_f32_e32 v9, v9
	s_waitcnt_depctr 0xfff
	v_ldexp_f32 v9, v9, v11
	v_cvt_i32_f32_e32 v11, v14
	s_delay_alu instid0(VALU_DEP_2) | instskip(SKIP_1) | instid1(VALU_DEP_2)
	v_cndmask_b32_e32 v9, 0, v9, vcc_lo
	v_cmp_nlt_f32_e32 vcc_lo, 0x42b17218, v8
	v_cndmask_b32_e32 v9, 0x7f800000, v9, vcc_lo
	v_cmp_ngt_f32_e32 vcc_lo, 0xc2ce8ed0, v0
	v_fmac_f32_e32 v13, 0x32a5705f, v0
	s_delay_alu instid0(VALU_DEP_1) | instskip(NEXT) | instid1(VALU_DEP_1)
	v_add_f32_e32 v10, v10, v13
	v_exp_f32_e32 v10, v10
	s_waitcnt_depctr 0xfff
	v_ldexp_f32 v10, v10, v11
	s_delay_alu instid0(VALU_DEP_1)
	v_dual_mov_b32 v11, v6 :: v_dual_cndmask_b32 v10, 0, v10
	v_cmp_le_f32_e32 vcc_lo, 0xc1a00000, v8
	s_waitcnt vmcnt(1)
	v_dual_cndmask_b32 v8, 0, v9 :: v_dual_mov_b32 v9, v5
	v_cmp_nlt_f32_e32 vcc_lo, 0x42b17218, v0
	v_cndmask_b32_e32 v5, 0x7f800000, v10, vcc_lo
	s_delay_alu instid0(VALU_DEP_3) | instskip(SKIP_2) | instid1(VALU_DEP_3)
	v_mul_f32_e32 v10, s11, v8
	v_cmp_le_f32_e32 vcc_lo, 0xc1a00000, v0
	v_mov_b32_e32 v0, v7
	v_mov_b32_e32 v6, v10
	s_waitcnt vmcnt(0)
	v_dual_cndmask_b32 v12, 0, v5 :: v_dual_mul_f32 v5, v4, v8
	s_delay_alu instid0(VALU_DEP_1) | instskip(NEXT) | instid1(VALU_DEP_2)
	v_dual_fmac_f32 v6, v11, v12 :: v_dual_add_nc_u32 v3, 0xffffff00, v3
	v_fmac_f32_e32 v5, v9, v12
	s_cbranch_scc0 .LBB20_3
	s_branch .LBB20_5
.LBB20_4:
	s_waitcnt lgkmcnt(0)
	v_mov_b32_e32 v6, s11
.LBB20_5:
	s_waitcnt vmcnt(0)
	s_delay_alu instid0(VALU_DEP_1) | instskip(NEXT) | instid1(VALU_DEP_1)
	v_div_scale_f32 v0, null, v6, v6, v5
	v_rcp_f32_e32 v3, v0
	s_waitcnt_depctr 0xfff
	v_fma_f32 v4, -v0, v3, 1.0
	s_delay_alu instid0(VALU_DEP_1) | instskip(SKIP_1) | instid1(VALU_DEP_1)
	v_fmac_f32_e32 v3, v4, v3
	v_div_scale_f32 v4, vcc_lo, v5, v6, v5
	v_mul_f32_e32 v7, v4, v3
	s_delay_alu instid0(VALU_DEP_1) | instskip(NEXT) | instid1(VALU_DEP_1)
	v_fma_f32 v8, -v0, v7, v4
	v_fmac_f32_e32 v7, v8, v3
	s_delay_alu instid0(VALU_DEP_1) | instskip(NEXT) | instid1(VALU_DEP_1)
	v_fma_f32 v0, -v0, v7, v4
	v_div_fmas_f32 v0, v0, v3, v7
	s_delay_alu instid0(VALU_DEP_1)
	v_div_fixup_f32 v0, v0, v6, v5
	global_store_b32 v[1:2], v0, off
.LBB20_6:
	s_nop 0
	s_sendmsg sendmsg(MSG_DEALLOC_VGPRS)
	s_endpgm
	.section	.rodata,"a",@progbits
	.p2align	6, 0x0
	.amdhsa_kernel _ZL33flash_attn_stream_k_fixup_uniformILi128ELi2ELi1EEvPfPK15HIP_vector_typeIfLj2EEiiiiiiS1_IjLj3EES5_S5_
		.amdhsa_group_segment_fixed_size 0
		.amdhsa_private_segment_fixed_size 0
		.amdhsa_kernarg_size 76
		.amdhsa_user_sgpr_count 13
		.amdhsa_user_sgpr_dispatch_ptr 0
		.amdhsa_user_sgpr_queue_ptr 0
		.amdhsa_user_sgpr_kernarg_segment_ptr 1
		.amdhsa_user_sgpr_dispatch_id 0
		.amdhsa_user_sgpr_private_segment_size 0
		.amdhsa_wavefront_size32 1
		.amdhsa_uses_dynamic_stack 0
		.amdhsa_enable_private_segment 0
		.amdhsa_system_sgpr_workgroup_id_x 1
		.amdhsa_system_sgpr_workgroup_id_y 1
		.amdhsa_system_sgpr_workgroup_id_z 1
		.amdhsa_system_sgpr_workgroup_info 0
		.amdhsa_system_vgpr_workitem_id 0
		.amdhsa_next_free_vgpr 15
		.amdhsa_next_free_sgpr 20
		.amdhsa_reserve_vcc 1
		.amdhsa_float_round_mode_32 0
		.amdhsa_float_round_mode_16_64 0
		.amdhsa_float_denorm_mode_32 3
		.amdhsa_float_denorm_mode_16_64 3
		.amdhsa_dx10_clamp 1
		.amdhsa_ieee_mode 1
		.amdhsa_fp16_overflow 0
		.amdhsa_workgroup_processor_mode 1
		.amdhsa_memory_ordered 1
		.amdhsa_forward_progress 0
		.amdhsa_shared_vgpr_count 0
		.amdhsa_exception_fp_ieee_invalid_op 0
		.amdhsa_exception_fp_denorm_src 0
		.amdhsa_exception_fp_ieee_div_zero 0
		.amdhsa_exception_fp_ieee_overflow 0
		.amdhsa_exception_fp_ieee_underflow 0
		.amdhsa_exception_fp_ieee_inexact 0
		.amdhsa_exception_int_div_zero 0
	.end_amdhsa_kernel
	.section	.text._ZL33flash_attn_stream_k_fixup_uniformILi128ELi2ELi1EEvPfPK15HIP_vector_typeIfLj2EEiiiiiiS1_IjLj3EES5_S5_,"axG",@progbits,_ZL33flash_attn_stream_k_fixup_uniformILi128ELi2ELi1EEvPfPK15HIP_vector_typeIfLj2EEiiiiiiS1_IjLj3EES5_S5_,comdat
.Lfunc_end20:
	.size	_ZL33flash_attn_stream_k_fixup_uniformILi128ELi2ELi1EEvPfPK15HIP_vector_typeIfLj2EEiiiiiiS1_IjLj3EES5_S5_, .Lfunc_end20-_ZL33flash_attn_stream_k_fixup_uniformILi128ELi2ELi1EEvPfPK15HIP_vector_typeIfLj2EEiiiiiiS1_IjLj3EES5_S5_
                                        ; -- End function
	.section	.AMDGPU.csdata,"",@progbits
; Kernel info:
; codeLenInByte = 976
; NumSgprs: 22
; NumVgprs: 15
; ScratchSize: 0
; MemoryBound: 0
; FloatMode: 240
; IeeeMode: 1
; LDSByteSize: 0 bytes/workgroup (compile time only)
; SGPRBlocks: 2
; VGPRBlocks: 1
; NumSGPRsForWavesPerEU: 22
; NumVGPRsForWavesPerEU: 15
; Occupancy: 16
; WaveLimiterHint : 0
; COMPUTE_PGM_RSRC2:SCRATCH_EN: 0
; COMPUTE_PGM_RSRC2:USER_SGPR: 13
; COMPUTE_PGM_RSRC2:TRAP_HANDLER: 0
; COMPUTE_PGM_RSRC2:TGID_X_EN: 1
; COMPUTE_PGM_RSRC2:TGID_Y_EN: 1
; COMPUTE_PGM_RSRC2:TGID_Z_EN: 1
; COMPUTE_PGM_RSRC2:TIDIG_COMP_CNT: 0
	.section	.text._ZL33flash_attn_stream_k_fixup_generalILi128ELi2ELi1EEvPfPK15HIP_vector_typeIfLj2EEiiiiS1_IjLj3EES5_S5_S5_,"axG",@progbits,_ZL33flash_attn_stream_k_fixup_generalILi128ELi2ELi1EEvPfPK15HIP_vector_typeIfLj2EEiiiiS1_IjLj3EES5_S5_S5_,comdat
	.globl	_ZL33flash_attn_stream_k_fixup_generalILi128ELi2ELi1EEvPfPK15HIP_vector_typeIfLj2EEiiiiS1_IjLj3EES5_S5_S5_ ; -- Begin function _ZL33flash_attn_stream_k_fixup_generalILi128ELi2ELi1EEvPfPK15HIP_vector_typeIfLj2EEiiiiS1_IjLj3EES5_S5_S5_
	.p2align	8
	.type	_ZL33flash_attn_stream_k_fixup_generalILi128ELi2ELi1EEvPfPK15HIP_vector_typeIfLj2EEiiiiS1_IjLj3EES5_S5_S5_,@function
_ZL33flash_attn_stream_k_fixup_generalILi128ELi2ELi1EEvPfPK15HIP_vector_typeIfLj2EEiiiiS1_IjLj3EES5_S5_S5_: ; @_ZL33flash_attn_stream_k_fixup_generalILi128ELi2ELi1EEvPfPK15HIP_vector_typeIfLj2EEiiiiS1_IjLj3EES5_S5_S5_
; %bb.0:
	s_clause 0x1
	s_load_b128 s[4:7], s[0:1], 0x10
	s_load_b32 s20, s[0:1], 0x50
	s_mov_b32 s2, 0
	s_waitcnt lgkmcnt(0)
	s_mul_hi_i32 s3, s7, s13
	s_mul_i32 s12, s7, s13
	s_cmp_lg_u64 s[2:3], 0
	s_cbranch_scc0 .LBB21_21
; %bb.1:
	v_cvt_f32_ubyte0_e32 v1, 0
	v_cvt_f32_u32_e32 v2, s20
	s_sub_u32 s10, 0, s20
	s_subb_u32 s11, 0, 0
	s_delay_alu instid0(VALU_DEP_1) | instskip(NEXT) | instid1(VALU_DEP_1)
	v_fmamk_f32 v1, v1, 0x4f800000, v2
	v_rcp_f32_e32 v1, v1
	s_waitcnt_depctr 0xfff
	v_mul_f32_e32 v1, 0x5f7ffffc, v1
	s_delay_alu instid0(VALU_DEP_1) | instskip(NEXT) | instid1(VALU_DEP_1)
	v_mul_f32_e32 v2, 0x2f800000, v1
	v_trunc_f32_e32 v2, v2
	s_delay_alu instid0(VALU_DEP_1) | instskip(SKIP_1) | instid1(VALU_DEP_2)
	v_fmamk_f32 v1, v2, 0xcf800000, v1
	v_cvt_u32_f32_e32 v2, v2
	v_cvt_u32_f32_e32 v1, v1
	s_delay_alu instid0(VALU_DEP_2) | instskip(NEXT) | instid1(VALU_DEP_2)
	v_readfirstlane_b32 s8, v2
	v_readfirstlane_b32 s9, v1
	s_delay_alu instid0(VALU_DEP_2) | instskip(NEXT) | instid1(VALU_DEP_1)
	s_mul_i32 s16, s10, s8
	s_mul_hi_u32 s18, s10, s9
	s_mul_i32 s17, s11, s9
	s_add_i32 s16, s18, s16
	s_mul_i32 s19, s10, s9
	s_add_i32 s16, s16, s17
	s_mul_hi_u32 s18, s9, s19
	s_mul_hi_u32 s21, s8, s19
	s_mul_i32 s17, s8, s19
	s_mul_hi_u32 s19, s9, s16
	s_mul_i32 s9, s9, s16
	s_mul_hi_u32 s22, s8, s16
	s_add_u32 s9, s18, s9
	s_addc_u32 s18, 0, s19
	s_add_u32 s9, s9, s17
	s_mul_i32 s16, s8, s16
	s_addc_u32 s9, s18, s21
	s_addc_u32 s17, s22, 0
	s_add_u32 s9, s9, s16
	s_addc_u32 s16, 0, s17
	v_add_co_u32 v1, s9, v1, s9
	s_delay_alu instid0(VALU_DEP_1) | instskip(SKIP_1) | instid1(VALU_DEP_1)
	s_cmp_lg_u32 s9, 0
	s_addc_u32 s8, s8, s16
	v_readfirstlane_b32 s9, v1
	s_mul_i32 s16, s10, s8
	s_delay_alu instid0(VALU_DEP_1)
	s_mul_hi_u32 s17, s10, s9
	s_mul_i32 s11, s11, s9
	s_add_i32 s16, s17, s16
	s_mul_i32 s10, s10, s9
	s_add_i32 s16, s16, s11
	s_mul_hi_u32 s17, s8, s10
	s_mul_i32 s18, s8, s10
	s_mul_hi_u32 s10, s9, s10
	s_mul_hi_u32 s19, s9, s16
	s_mul_i32 s9, s9, s16
	s_mul_hi_u32 s11, s8, s16
	s_add_u32 s9, s10, s9
	s_addc_u32 s10, 0, s19
	s_add_u32 s9, s9, s18
	s_mul_i32 s16, s8, s16
	s_addc_u32 s9, s10, s17
	s_addc_u32 s10, s11, 0
	s_add_u32 s9, s9, s16
	s_addc_u32 s10, 0, s10
	v_add_co_u32 v1, s9, v1, s9
	s_delay_alu instid0(VALU_DEP_1) | instskip(SKIP_2) | instid1(SALU_CYCLE_1)
	s_cmp_lg_u32 s9, 0
	s_addc_u32 s16, s8, s10
	s_ashr_i32 s8, s3, 31
	s_add_u32 s10, s12, s8
	s_addc_u32 s11, s3, s8
	v_readfirstlane_b32 s3, v1
	s_mov_b32 s9, s8
	s_delay_alu instid0(SALU_CYCLE_1) | instskip(NEXT) | instid1(SALU_CYCLE_1)
	s_xor_b64 s[10:11], s[10:11], s[8:9]
	s_mul_i32 s18, s10, s16
	s_delay_alu instid0(VALU_DEP_1)
	s_mul_hi_u32 s19, s10, s3
	s_mul_hi_u32 s17, s10, s16
	s_mul_hi_u32 s22, s11, s3
	s_mul_i32 s3, s11, s3
	s_add_u32 s18, s19, s18
	s_addc_u32 s17, 0, s17
	s_mul_hi_u32 s21, s11, s16
	s_add_u32 s3, s18, s3
	s_mul_i32 s16, s11, s16
	s_addc_u32 s3, s17, s22
	s_addc_u32 s17, s21, 0
	s_add_u32 s3, s3, s16
	s_addc_u32 s16, 0, s17
	s_mul_i32 s18, s20, s3
	s_add_u32 s17, s3, 1
	v_sub_co_u32 v1, s10, s10, s18
	s_mul_hi_u32 s18, s20, s3
	s_addc_u32 s19, s16, 0
	s_mul_i32 s21, s20, s16
	s_delay_alu instid0(VALU_DEP_1)
	v_sub_co_u32 v2, s22, v1, s20
	s_add_u32 s23, s3, 2
	s_addc_u32 s24, s16, 0
	s_add_i32 s18, s18, s21
	s_cmp_lg_u32 s10, 0
	v_readfirstlane_b32 s10, v2
	s_subb_u32 s11, s11, s18
	s_cmp_lg_u32 s22, 0
	s_subb_u32 s18, s11, 0
	s_delay_alu instid0(VALU_DEP_1) | instskip(SKIP_4) | instid1(SALU_CYCLE_1)
	s_cmp_ge_u32 s10, s20
	s_cselect_b32 s10, -1, 0
	s_cmp_eq_u32 s18, 0
	v_readfirstlane_b32 s18, v1
	s_cselect_b32 s10, s10, -1
	s_cmp_lg_u32 s10, 0
	s_cselect_b32 s10, s23, s17
	s_cselect_b32 s17, s24, s19
	s_cmp_ge_u32 s18, s20
	s_cselect_b32 s18, -1, 0
	s_cmp_eq_u32 s11, 0
	s_cselect_b32 s11, s18, -1
	s_delay_alu instid0(SALU_CYCLE_1) | instskip(SKIP_2) | instid1(SALU_CYCLE_1)
	s_cmp_lg_u32 s11, 0
	s_cselect_b32 s11, s17, s16
	s_cselect_b32 s10, s10, s3
	s_xor_b64 s[10:11], s[10:11], s[8:9]
	s_delay_alu instid0(SALU_CYCLE_1)
	s_sub_u32 s16, s10, s8
	s_load_b128 s[8:11], s[0:1], 0x44
	s_and_not1_b32 vcc_lo, exec_lo, s2
	s_cbranch_vccnz .LBB21_3
.LBB21_2:
	v_cvt_f32_u32_e32 v1, s20
	s_sub_i32 s3, 0, s20
	s_delay_alu instid0(VALU_DEP_1) | instskip(SKIP_2) | instid1(VALU_DEP_1)
	v_rcp_iflag_f32_e32 v1, v1
	s_waitcnt_depctr 0xfff
	v_mul_f32_e32 v1, 0x4f7ffffe, v1
	v_cvt_u32_f32_e32 v1, v1
	s_delay_alu instid0(VALU_DEP_1) | instskip(NEXT) | instid1(VALU_DEP_1)
	v_readfirstlane_b32 s2, v1
	s_mul_i32 s3, s3, s2
	s_delay_alu instid0(SALU_CYCLE_1) | instskip(NEXT) | instid1(SALU_CYCLE_1)
	s_mul_hi_u32 s3, s2, s3
	s_add_i32 s2, s2, s3
	s_delay_alu instid0(SALU_CYCLE_1) | instskip(NEXT) | instid1(SALU_CYCLE_1)
	s_mul_hi_u32 s2, s12, s2
	s_mul_i32 s3, s2, s20
	s_waitcnt lgkmcnt(0)
	s_add_i32 s11, s2, 1
	s_sub_i32 s3, s12, s3
	s_delay_alu instid0(SALU_CYCLE_1)
	s_sub_i32 s12, s3, s20
	s_cmp_ge_u32 s3, s20
	s_cselect_b32 s2, s11, s2
	s_cselect_b32 s3, s12, s3
	s_add_i32 s11, s2, 1
	s_cmp_ge_u32 s3, s20
	s_cselect_b32 s16, s11, s2
.LBB21_3:
	s_waitcnt lgkmcnt(0)
	s_add_i32 s11, s13, 1
	s_mov_b32 s2, 0
	s_mul_hi_i32 s3, s7, s11
	s_mul_i32 s11, s7, s11
	s_cmp_lg_u64 s[2:3], 0
	s_cbranch_scc0 .LBB21_22
; %bb.4:
	v_cvt_f32_ubyte0_e32 v1, 0
	v_cvt_f32_u32_e32 v2, s20
	s_sub_u32 s18, 0, s20
	s_subb_u32 s19, 0, 0
	s_delay_alu instid0(VALU_DEP_1) | instskip(NEXT) | instid1(VALU_DEP_1)
	v_fmamk_f32 v1, v1, 0x4f800000, v2
	v_rcp_f32_e32 v1, v1
	s_waitcnt_depctr 0xfff
	v_mul_f32_e32 v1, 0x5f7ffffc, v1
	s_delay_alu instid0(VALU_DEP_1) | instskip(NEXT) | instid1(VALU_DEP_1)
	v_mul_f32_e32 v2, 0x2f800000, v1
	v_trunc_f32_e32 v2, v2
	s_delay_alu instid0(VALU_DEP_1) | instskip(SKIP_1) | instid1(VALU_DEP_2)
	v_fmamk_f32 v1, v2, 0xcf800000, v1
	v_cvt_u32_f32_e32 v2, v2
	v_cvt_u32_f32_e32 v1, v1
	s_delay_alu instid0(VALU_DEP_2) | instskip(NEXT) | instid1(VALU_DEP_2)
	v_readfirstlane_b32 s12, v2
	v_readfirstlane_b32 s17, v1
	s_delay_alu instid0(VALU_DEP_2) | instskip(NEXT) | instid1(VALU_DEP_1)
	s_mul_i32 s21, s18, s12
	s_mul_hi_u32 s23, s18, s17
	s_mul_i32 s22, s19, s17
	s_add_i32 s21, s23, s21
	s_mul_i32 s24, s18, s17
	s_add_i32 s21, s21, s22
	s_mul_hi_u32 s23, s17, s24
	s_mul_hi_u32 s25, s12, s24
	s_mul_i32 s22, s12, s24
	s_mul_hi_u32 s24, s17, s21
	s_mul_i32 s17, s17, s21
	s_mul_hi_u32 s26, s12, s21
	s_add_u32 s17, s23, s17
	s_addc_u32 s23, 0, s24
	s_add_u32 s17, s17, s22
	s_mul_i32 s21, s12, s21
	s_addc_u32 s17, s23, s25
	s_addc_u32 s22, s26, 0
	s_add_u32 s17, s17, s21
	s_addc_u32 s21, 0, s22
	v_add_co_u32 v1, s17, v1, s17
	s_delay_alu instid0(VALU_DEP_1) | instskip(SKIP_1) | instid1(VALU_DEP_1)
	s_cmp_lg_u32 s17, 0
	s_addc_u32 s12, s12, s21
	v_readfirstlane_b32 s17, v1
	s_mul_i32 s21, s18, s12
	s_delay_alu instid0(VALU_DEP_1)
	s_mul_hi_u32 s22, s18, s17
	s_mul_i32 s19, s19, s17
	s_add_i32 s21, s22, s21
	s_mul_i32 s18, s18, s17
	s_add_i32 s21, s21, s19
	s_mul_hi_u32 s22, s12, s18
	s_mul_i32 s23, s12, s18
	s_mul_hi_u32 s18, s17, s18
	s_mul_hi_u32 s24, s17, s21
	s_mul_i32 s17, s17, s21
	s_mul_hi_u32 s19, s12, s21
	s_add_u32 s17, s18, s17
	s_addc_u32 s18, 0, s24
	s_add_u32 s17, s17, s23
	s_mul_i32 s21, s12, s21
	s_addc_u32 s17, s18, s22
	s_addc_u32 s18, s19, 0
	s_add_u32 s17, s17, s21
	s_addc_u32 s18, 0, s18
	v_add_co_u32 v1, s17, v1, s17
	s_delay_alu instid0(VALU_DEP_1) | instskip(SKIP_2) | instid1(SALU_CYCLE_1)
	s_cmp_lg_u32 s17, 0
	s_addc_u32 s12, s12, s18
	s_ashr_i32 s18, s3, 31
	s_add_u32 s22, s11, s18
	s_addc_u32 s23, s3, s18
	v_readfirstlane_b32 s3, v1
	s_mov_b32 s19, s18
	s_delay_alu instid0(SALU_CYCLE_1) | instskip(NEXT) | instid1(SALU_CYCLE_1)
	s_xor_b64 s[22:23], s[22:23], s[18:19]
	s_mul_i32 s21, s22, s12
	s_delay_alu instid0(VALU_DEP_1)
	s_mul_hi_u32 s24, s22, s3
	s_mul_hi_u32 s17, s22, s12
	s_mul_hi_u32 s26, s23, s3
	s_mul_i32 s3, s23, s3
	s_add_u32 s21, s24, s21
	s_addc_u32 s17, 0, s17
	s_mul_hi_u32 s25, s23, s12
	s_add_u32 s3, s21, s3
	s_mul_i32 s12, s23, s12
	s_addc_u32 s3, s17, s26
	s_addc_u32 s17, s25, 0
	s_add_u32 s3, s3, s12
	s_addc_u32 s12, 0, s17
	s_mul_i32 s21, s20, s3
	s_add_u32 s17, s3, 1
	v_sub_co_u32 v1, s21, s22, s21
	s_mul_hi_u32 s22, s20, s3
	s_addc_u32 s24, s12, 0
	s_mul_i32 s25, s20, s12
	s_delay_alu instid0(VALU_DEP_1)
	v_sub_co_u32 v2, s26, v1, s20
	s_add_u32 s27, s3, 2
	s_addc_u32 s28, s12, 0
	s_add_i32 s22, s22, s25
	s_cmp_lg_u32 s21, 0
	v_readfirstlane_b32 s21, v2
	s_subb_u32 s22, s23, s22
	s_cmp_lg_u32 s26, 0
	s_subb_u32 s23, s22, 0
	s_delay_alu instid0(VALU_DEP_1) | instskip(SKIP_4) | instid1(SALU_CYCLE_1)
	s_cmp_ge_u32 s21, s20
	s_cselect_b32 s21, -1, 0
	s_cmp_eq_u32 s23, 0
	v_readfirstlane_b32 s23, v1
	s_cselect_b32 s21, s21, -1
	s_cmp_lg_u32 s21, 0
	s_cselect_b32 s17, s27, s17
	s_cselect_b32 s21, s28, s24
	s_cmp_ge_u32 s23, s20
	s_cselect_b32 s23, -1, 0
	s_cmp_eq_u32 s22, 0
	s_cselect_b32 s22, s23, -1
	s_delay_alu instid0(SALU_CYCLE_1) | instskip(SKIP_2) | instid1(SALU_CYCLE_1)
	s_cmp_lg_u32 s22, 0
	s_cselect_b32 s23, s21, s12
	s_cselect_b32 s22, s17, s3
	s_xor_b64 s[22:23], s[22:23], s[18:19]
	s_delay_alu instid0(SALU_CYCLE_1)
	s_sub_u32 s18, s22, s18
	s_and_not1_b32 vcc_lo, exec_lo, s2
	s_cbranch_vccnz .LBB21_6
.LBB21_5:
	v_cvt_f32_u32_e32 v1, s20
	s_sub_i32 s3, 0, s20
	s_delay_alu instid0(VALU_DEP_1) | instskip(SKIP_2) | instid1(VALU_DEP_1)
	v_rcp_iflag_f32_e32 v1, v1
	s_waitcnt_depctr 0xfff
	v_mul_f32_e32 v1, 0x4f7ffffe, v1
	v_cvt_u32_f32_e32 v1, v1
	s_delay_alu instid0(VALU_DEP_1) | instskip(NEXT) | instid1(VALU_DEP_1)
	v_readfirstlane_b32 s2, v1
	s_mul_i32 s3, s3, s2
	s_delay_alu instid0(SALU_CYCLE_1) | instskip(NEXT) | instid1(SALU_CYCLE_1)
	s_mul_hi_u32 s3, s2, s3
	s_add_i32 s2, s2, s3
	s_delay_alu instid0(SALU_CYCLE_1) | instskip(NEXT) | instid1(SALU_CYCLE_1)
	s_mul_hi_u32 s2, s11, s2
	s_mul_i32 s3, s2, s20
	s_delay_alu instid0(SALU_CYCLE_1)
	s_sub_i32 s3, s11, s3
	s_add_i32 s11, s2, 1
	s_sub_i32 s12, s3, s20
	s_cmp_ge_u32 s3, s20
	s_cselect_b32 s2, s11, s2
	s_cselect_b32 s3, s12, s3
	s_add_i32 s11, s2, 1
	s_cmp_ge_u32 s3, s20
	s_cselect_b32 s18, s11, s2
.LBB21_6:
	s_delay_alu instid0(SALU_CYCLE_1) | instskip(SKIP_3) | instid1(SALU_CYCLE_1)
	s_cmp_eq_u32 s16, s18
	s_mul_hi_u32 s2, s16, s8
	s_cselect_b32 s3, -1, 0
	s_add_i32 s2, s2, s16
	s_lshr_b32 s11, s2, s9
	s_delay_alu instid0(SALU_CYCLE_1) | instskip(NEXT) | instid1(SALU_CYCLE_1)
	s_mul_i32 s2, s11, s10
	s_cmp_eq_u32 s2, s16
	s_mul_hi_u32 s2, s18, s8
	s_cselect_b32 s12, -1, 0
	s_add_i32 s2, s2, s18
	s_delay_alu instid0(SALU_CYCLE_1) | instskip(NEXT) | instid1(SALU_CYCLE_1)
	s_lshr_b32 s2, s2, s9
	s_cmp_eq_u32 s11, s2
	s_mul_i32 s2, s2, s10
	s_cselect_b32 s17, -1, 0
	s_cmp_lg_u32 s2, s18
	s_cselect_b32 s2, -1, 0
	s_or_b32 s3, s3, s12
	s_and_b32 s2, s17, s2
	s_delay_alu instid0(SALU_CYCLE_1) | instskip(NEXT) | instid1(SALU_CYCLE_1)
	s_or_b32 s2, s3, s2
	s_and_b32 vcc_lo, exec_lo, s2
	s_cbranch_vccnz .LBB21_24
; %bb.7:
	s_load_b256 s[24:31], s[0:1], 0x20
	s_waitcnt lgkmcnt(0)
	s_mul_hi_u32 s2, s16, s24
	s_delay_alu instid0(SALU_CYCLE_1) | instskip(NEXT) | instid1(SALU_CYCLE_1)
	s_add_i32 s2, s2, s16
	s_lshr_b32 s18, s2, s25
	s_load_b32 s2, s[0:1], 0x40
	s_mul_i32 s3, s18, s26
	s_delay_alu instid0(SALU_CYCLE_1) | instskip(NEXT) | instid1(SALU_CYCLE_1)
	s_sub_i32 s3, s16, s3
	s_mul_hi_u32 s12, s3, s27
	s_delay_alu instid0(SALU_CYCLE_1) | instskip(NEXT) | instid1(SALU_CYCLE_1)
	s_add_i32 s12, s3, s12
	s_lshr_b32 s21, s12, s28
	s_delay_alu instid0(SALU_CYCLE_1) | instskip(NEXT) | instid1(SALU_CYCLE_1)
	s_mul_i32 s12, s21, s29
	s_sub_i32 s3, s3, s12
	s_delay_alu instid0(SALU_CYCLE_1) | instskip(NEXT) | instid1(SALU_CYCLE_1)
	s_mul_hi_u32 s12, s3, s30
	s_add_i32 s12, s3, s12
	s_delay_alu instid0(SALU_CYCLE_1) | instskip(SKIP_3) | instid1(SALU_CYCLE_1)
	s_lshr_b32 s22, s12, s31
	s_mov_b32 s12, 0
	s_waitcnt lgkmcnt(0)
	s_mul_i32 s2, s22, s2
	s_sub_i32 s2, s3, s2
	s_delay_alu instid0(SALU_CYCLE_1) | instskip(NEXT) | instid1(SALU_CYCLE_1)
	s_mul_hi_u32 s3, s2, s8
	s_add_i32 s2, s2, s3
	s_delay_alu instid0(SALU_CYCLE_1) | instskip(NEXT) | instid1(SALU_CYCLE_1)
	s_lshr_b32 s23, s2, s9
	s_lshl_b32 s2, s23, 1
	s_delay_alu instid0(SALU_CYCLE_1) | instskip(NEXT) | instid1(SALU_CYCLE_1)
	s_add_i32 s2, s2, s14
	s_cmp_lt_i32 s2, s4
	s_cselect_b32 s2, -1, 0
	s_add_i32 s3, s22, s15
	s_delay_alu instid0(SALU_CYCLE_1) | instskip(SKIP_1) | instid1(SALU_CYCLE_1)
	s_cmp_lt_i32 s3, s6
	s_cselect_b32 s3, -1, 0
	s_and_b32 s2, s2, s3
	s_delay_alu instid0(SALU_CYCLE_1)
	s_and_not1_b32 vcc_lo, exec_lo, s2
	s_cbranch_vccnz .LBB21_24
; %bb.8:
	s_load_b128 s[0:3], s[0:1], 0x0
	s_lshl_b32 s24, s20, 3
	s_mov_b32 s25, s12
	s_add_i32 s17, s14, s15
	s_lshl_b64 s[24:25], s[24:25], 2
	s_mul_i32 s4, s18, s4
	s_mul_i32 s21, s21, s6
	v_cvt_f32_ubyte0_e32 v4, 0
	v_cvt_f32_u32_e32 v5, s20
	s_waitcnt lgkmcnt(0)
	s_add_u32 s18, s2, s24
	s_addc_u32 s19, s3, s25
	s_add_i32 s4, s4, s14
	s_delay_alu instid0(SALU_CYCLE_1) | instskip(SKIP_4) | instid1(SALU_CYCLE_1)
	s_mul_i32 s4, s4, s5
	s_mul_i32 s5, s5, s23
	s_add_i32 s4, s4, s15
	s_lshl_b32 s5, s5, 8
	s_add_i32 s4, s4, s21
	s_add_i32 s4, s4, s22
	s_delay_alu instid0(SALU_CYCLE_1) | instskip(NEXT) | instid1(SALU_CYCLE_1)
	s_lshl_b32 s4, s4, 7
	s_add_i32 s5, s5, s4
	s_delay_alu instid0(SALU_CYCLE_1) | instskip(SKIP_1) | instid1(VALU_DEP_2)
	v_or_b32_e32 v1, s5, v0
	v_lshl_or_b32 v0, s17, 7, v0
	v_ashrrev_i32_e32 v2, 31, v1
	s_delay_alu instid0(VALU_DEP_1) | instskip(NEXT) | instid1(VALU_DEP_1)
	v_lshlrev_b64 v[1:2], 2, v[1:2]
	v_add_co_u32 v1, vcc_lo, s0, v1
	s_delay_alu instid0(VALU_DEP_2) | instskip(SKIP_1) | instid1(SALU_CYCLE_1)
	v_add_co_ci_u32_e32 v2, vcc_lo, s1, v2, vcc_lo
	s_lshl_b32 s0, s13, 1
	s_add_i32 s0, s0, s17
	global_load_b32 v3, v[1:2], off
	s_ashr_i32 s1, s0, 31
	s_delay_alu instid0(SALU_CYCLE_1) | instskip(NEXT) | instid1(SALU_CYCLE_1)
	s_lshl_b64 s[0:1], s[0:1], 3
	s_add_u32 s0, s2, s0
	s_addc_u32 s1, s3, s1
	s_add_i32 s14, s13, -1
	s_load_b64 s[0:1], s[0:1], 0x0
	v_fmac_f32_e32 v5, 0x4f800000, v4
	s_sub_i32 s6, 0, s20
	s_waitcnt lgkmcnt(0)
	v_mov_b32_e32 v8, s0
	s_delay_alu instid0(VALU_DEP_2) | instskip(SKIP_2) | instid1(VALU_DEP_2)
	v_rcp_f32_e32 v4, v5
	v_cvt_f32_u32_e32 v5, s20
	v_mov_b32_e32 v7, s1
	v_rcp_iflag_f32_e32 v5, v5
	s_waitcnt_depctr 0xfff
	v_mul_f32_e32 v4, 0x5f7ffffc, v4
	s_delay_alu instid0(VALU_DEP_1) | instskip(SKIP_1) | instid1(VALU_DEP_2)
	v_mul_f32_e32 v6, 0x2f800000, v4
	v_mul_f32_e32 v9, 0x4f7ffffe, v5
	v_trunc_f32_e32 v6, v6
	s_delay_alu instid0(VALU_DEP_1) | instskip(SKIP_1) | instid1(VALU_DEP_4)
	v_fmac_f32_e32 v4, 0xcf800000, v6
	v_cvt_u32_f32_e32 v5, v6
	v_cvt_u32_f32_e32 v6, v9
	s_delay_alu instid0(VALU_DEP_3)
	v_cvt_u32_f32_e32 v4, v4
.LBB21_9:                               ; =>This Inner Loop Header: Depth=1
	s_mul_hi_i32 s13, s14, s7
	s_mul_i32 s4, s14, s7
	s_cmp_lg_u64 s[12:13], 0
	s_mov_b32 s5, -1
                                        ; implicit-def: $sgpr0_sgpr1
	s_cbranch_scc0 .LBB21_11
; %bb.10:                               ;   in Loop: Header=BB21_9 Depth=1
	v_readfirstlane_b32 s0, v4
	v_readfirstlane_b32 s1, v5
	s_sub_u32 s5, 0, s20
	s_subb_u32 s15, 0, 0
	s_delay_alu instid0(VALU_DEP_2) | instskip(NEXT) | instid1(VALU_DEP_1)
	s_mul_hi_u32 s21, s5, s0
	s_mul_i32 s22, s5, s1
	s_mul_i32 s23, s15, s0
	s_add_i32 s21, s21, s22
	s_mul_i32 s22, s5, s0
	s_add_i32 s21, s21, s23
	s_mul_hi_u32 s23, s0, s22
	s_mul_i32 s24, s0, s21
	s_mul_hi_u32 s0, s0, s21
	s_add_u32 s23, s23, s24
	s_mul_i32 s25, s1, s22
	s_addc_u32 s0, 0, s0
	s_mul_hi_u32 s22, s1, s22
	s_mul_hi_u32 s24, s1, s21
	s_add_u32 s23, s23, s25
	s_addc_u32 s0, s0, s22
	s_mul_i32 s21, s1, s21
	s_addc_u32 s22, s24, 0
	s_add_u32 s0, s0, s21
	s_addc_u32 s21, 0, s22
	v_add_co_u32 v9, s0, v4, s0
	s_delay_alu instid0(VALU_DEP_1) | instskip(SKIP_1) | instid1(VALU_DEP_1)
	s_cmp_lg_u32 s0, 0
	s_addc_u32 s1, s1, s21
	v_readfirstlane_b32 s0, v9
	s_mul_i32 s21, s5, s1
	s_delay_alu instid0(VALU_DEP_1)
	s_mul_hi_u32 s22, s5, s0
	s_mul_i32 s15, s15, s0
	s_add_i32 s21, s22, s21
	s_mul_i32 s5, s5, s0
	s_add_i32 s21, s21, s15
	s_mul_hi_u32 s15, s1, s5
	s_mul_i32 s23, s1, s5
	s_mul_i32 s24, s0, s21
	s_mul_hi_u32 s5, s0, s5
	s_mul_hi_u32 s0, s0, s21
	s_add_u32 s5, s5, s24
	s_addc_u32 s0, 0, s0
	s_mul_hi_u32 s22, s1, s21
	s_add_u32 s5, s5, s23
	s_addc_u32 s0, s0, s15
	s_mul_i32 s5, s1, s21
	s_addc_u32 s15, s22, 0
	s_add_u32 s0, s0, s5
	s_addc_u32 s5, 0, s15
	v_add_co_u32 v9, s0, v9, s0
	s_delay_alu instid0(VALU_DEP_1) | instskip(SKIP_2) | instid1(SALU_CYCLE_1)
	s_cmp_lg_u32 s0, 0
	s_addc_u32 s5, s1, s5
	s_ashr_i32 s0, s13, 31
	s_add_u32 s22, s4, s0
	s_addc_u32 s23, s13, s0
	v_readfirstlane_b32 s13, v9
	s_mov_b32 s1, s0
	s_delay_alu instid0(SALU_CYCLE_1) | instskip(NEXT) | instid1(SALU_CYCLE_1)
	s_xor_b64 s[22:23], s[22:23], s[0:1]
	s_mul_i32 s15, s22, s5
	s_delay_alu instid0(VALU_DEP_1)
	s_mul_hi_u32 s21, s22, s13
	s_mul_hi_u32 s24, s22, s5
	s_add_u32 s15, s21, s15
	s_mul_i32 s25, s23, s13
	s_addc_u32 s21, 0, s24
	s_mul_hi_u32 s13, s23, s13
	s_mul_hi_u32 s24, s23, s5
	s_add_u32 s15, s15, s25
	s_addc_u32 s13, s21, s13
	s_mul_i32 s5, s23, s5
	s_addc_u32 s15, s24, 0
	s_add_u32 s5, s13, s5
	s_addc_u32 s13, 0, s15
	s_mul_i32 s21, s20, s5
	s_add_u32 s15, s5, 1
	v_sub_co_u32 v9, s21, s22, s21
	s_addc_u32 s22, s13, 0
	s_mul_i32 s25, s20, s13
	s_mul_hi_u32 s27, s20, s5
	s_delay_alu instid0(VALU_DEP_1)
	v_sub_co_u32 v10, s26, v9, s20
	s_add_u32 s24, s5, 2
	s_addc_u32 s28, s13, 0
	s_add_i32 s27, s27, s25
	s_cmp_lg_u32 s21, 0
	v_readfirstlane_b32 s21, v10
	s_subb_u32 s23, s23, s27
	s_cmp_lg_u32 s26, 0
	s_subb_u32 s25, s23, 0
	s_delay_alu instid0(VALU_DEP_1) | instskip(SKIP_4) | instid1(SALU_CYCLE_1)
	s_cmp_ge_u32 s21, s20
	s_cselect_b32 s21, -1, 0
	s_cmp_eq_u32 s25, 0
	v_readfirstlane_b32 s25, v9
	s_cselect_b32 s21, s21, -1
	s_cmp_lg_u32 s21, 0
	s_cselect_b32 s15, s24, s15
	s_cselect_b32 s21, s28, s22
	s_cmp_ge_u32 s25, s20
	s_cselect_b32 s22, -1, 0
	s_cmp_eq_u32 s23, 0
	s_cselect_b32 s22, s22, -1
	s_delay_alu instid0(SALU_CYCLE_1) | instskip(SKIP_4) | instid1(SALU_CYCLE_1)
	s_cmp_lg_u32 s22, 0
	s_cselect_b32 s23, s21, s13
	s_cselect_b32 s22, s15, s5
	s_mov_b32 s5, 0
	s_xor_b64 s[22:23], s[22:23], s[0:1]
	s_sub_u32 s0, s22, s0
.LBB21_11:                              ;   in Loop: Header=BB21_9 Depth=1
	s_and_not1_b32 vcc_lo, exec_lo, s5
	s_cbranch_vccnz .LBB21_13
; %bb.12:                               ;   in Loop: Header=BB21_9 Depth=1
	v_readfirstlane_b32 s0, v6
	s_delay_alu instid0(VALU_DEP_1) | instskip(NEXT) | instid1(SALU_CYCLE_1)
	s_mul_i32 s1, s6, s0
	s_mul_hi_u32 s1, s0, s1
	s_delay_alu instid0(SALU_CYCLE_1) | instskip(NEXT) | instid1(SALU_CYCLE_1)
	s_add_i32 s0, s0, s1
	s_mul_hi_u32 s0, s4, s0
	s_delay_alu instid0(SALU_CYCLE_1) | instskip(NEXT) | instid1(SALU_CYCLE_1)
	s_mul_i32 s1, s0, s20
	s_sub_i32 s1, s4, s1
	s_add_i32 s4, s0, 1
	s_sub_i32 s5, s1, s20
	s_cmp_ge_u32 s1, s20
	s_cselect_b32 s0, s4, s0
	s_cselect_b32 s1, s5, s1
	s_add_i32 s4, s0, 1
	s_cmp_ge_u32 s1, s20
	s_cselect_b32 s0, s4, s0
.LBB21_13:                              ;   in Loop: Header=BB21_9 Depth=1
	s_delay_alu instid0(SALU_CYCLE_1)
	s_cmp_lg_u32 s16, s0
	s_cbranch_scc0 .LBB21_17
; %bb.14:                               ;   in Loop: Header=BB21_9 Depth=1
	s_add_i32 s1, s14, s20
	s_mov_b32 s5, s12
	s_lshl_b32 s1, s1, 1
	s_mov_b32 s15, s16
	s_add_i32 s4, s1, s17
	s_mul_hi_u32 s1, s0, s8
	s_lshl_b64 s[4:5], s[4:5], 3
	s_delay_alu instid0(SALU_CYCLE_1) | instskip(SKIP_2) | instid1(SALU_CYCLE_1)
	s_add_u32 s4, s2, s4
	s_addc_u32 s5, s3, s5
	s_add_i32 s1, s1, s0
	s_lshr_b32 s1, s1, s9
	s_delay_alu instid0(SALU_CYCLE_1) | instskip(NEXT) | instid1(SALU_CYCLE_1)
	s_mul_i32 s13, s1, s10
	s_cmp_eq_u32 s13, s0
	s_cselect_b32 s13, -1, 0
	s_cmp_lt_u32 s1, s11
	s_cselect_b32 s1, -1, 0
	s_delay_alu instid0(SALU_CYCLE_1)
	s_or_b32 s1, s1, s13
	s_mov_b32 s13, -1
	s_and_b32 vcc_lo, exec_lo, s1
	s_mov_b32 s1, s14
	s_cbranch_vccnz .LBB21_16
; %bb.15:                               ;   in Loop: Header=BB21_9 Depth=1
	s_add_i32 s1, s14, -1
	s_mov_b32 s13, 0
	s_mov_b32 s15, s0
.LBB21_16:                              ;   in Loop: Header=BB21_9 Depth=1
	v_lshl_add_u32 v9, s14, 8, v0
	s_load_b64 s[4:5], s[4:5], 0x0
	s_delay_alu instid0(VALU_DEP_1) | instskip(NEXT) | instid1(VALU_DEP_1)
	v_ashrrev_i32_e32 v10, 31, v9
	v_lshlrev_b64 v[9:10], 2, v[9:10]
	s_delay_alu instid0(VALU_DEP_1) | instskip(NEXT) | instid1(VALU_DEP_2)
	v_add_co_u32 v9, vcc_lo, s18, v9
	v_add_co_ci_u32_e32 v10, vcc_lo, s19, v10, vcc_lo
	s_waitcnt lgkmcnt(0)
	v_max_f32_e64 v11, s4, s4
	global_load_b32 v10, v[9:10], off
	v_max_f32_e32 v9, v8, v8
	s_delay_alu instid0(VALU_DEP_1) | instskip(NEXT) | instid1(VALU_DEP_1)
	v_max_f32_e32 v9, v9, v11
	v_sub_f32_e32 v12, v8, v9
	s_delay_alu instid0(VALU_DEP_1) | instskip(NEXT) | instid1(VALU_DEP_1)
	v_dual_mul_f32 v14, 0x3fb8aa3b, v12 :: v_dual_sub_f32 v11, s4, v9
	v_rndne_f32_e32 v18, v14
	s_delay_alu instid0(VALU_DEP_2) | instskip(SKIP_2) | instid1(VALU_DEP_4)
	v_mul_f32_e32 v13, 0x3fb8aa3b, v11
	v_fma_f32 v17, 0x3fb8aa3b, v12, -v14
	v_cmp_ngt_f32_e32 vcc_lo, 0xc2ce8ed0, v11
	v_sub_f32_e32 v14, v14, v18
	s_delay_alu instid0(VALU_DEP_4) | instskip(SKIP_2) | instid1(VALU_DEP_3)
	v_fma_f32 v15, 0x3fb8aa3b, v11, -v13
	v_rndne_f32_e32 v16, v13
	v_fmac_f32_e32 v17, 0x32a5705f, v12
	v_fmac_f32_e32 v15, 0x32a5705f, v11
	s_delay_alu instid0(VALU_DEP_2) | instskip(NEXT) | instid1(VALU_DEP_1)
	v_dual_sub_f32 v13, v13, v16 :: v_dual_add_f32 v14, v14, v17
	v_add_f32_e32 v13, v13, v15
	s_delay_alu instid0(VALU_DEP_2) | instskip(SKIP_2) | instid1(VALU_DEP_3)
	v_exp_f32_e32 v14, v14
	v_cvt_i32_f32_e32 v15, v16
	v_cvt_i32_f32_e32 v16, v18
	v_exp_f32_e32 v13, v13
	s_waitcnt_depctr 0xfff
	v_ldexp_f32 v14, v14, v16
	v_ldexp_f32 v13, v13, v15
	s_delay_alu instid0(VALU_DEP_1) | instskip(SKIP_1) | instid1(VALU_DEP_4)
	v_cndmask_b32_e32 v13, 0, v13, vcc_lo
	v_cmp_ngt_f32_e32 vcc_lo, 0xc2ce8ed0, v12
	v_cndmask_b32_e32 v14, 0, v14, vcc_lo
	v_cmp_nlt_f32_e32 vcc_lo, 0x42b17218, v11
	s_delay_alu instid0(VALU_DEP_4) | instskip(SKIP_1) | instid1(VALU_DEP_4)
	v_cndmask_b32_e32 v13, 0x7f800000, v13, vcc_lo
	v_cmp_nlt_f32_e32 vcc_lo, 0x42b17218, v12
	v_cndmask_b32_e32 v14, 0x7f800000, v14, vcc_lo
	v_cmp_le_f32_e32 vcc_lo, 0xc1a00000, v11
	s_delay_alu instid0(VALU_DEP_4) | instskip(SKIP_1) | instid1(VALU_DEP_4)
	v_cndmask_b32_e32 v11, 0, v13, vcc_lo
	v_cmp_le_f32_e32 vcc_lo, 0xc1a00000, v12
	v_cndmask_b32_e32 v12, 0, v14, vcc_lo
	s_waitcnt vmcnt(0)
	s_delay_alu instid0(VALU_DEP_3) | instskip(NEXT) | instid1(VALU_DEP_1)
	v_mul_f32_e32 v10, v10, v11
	v_dual_mul_f32 v11, s5, v11 :: v_dual_fmac_f32 v10, v3, v12
	s_delay_alu instid0(VALU_DEP_1)
	v_fmac_f32_e32 v11, v7, v12
	s_cbranch_execz .LBB21_18
	s_branch .LBB21_19
.LBB21_17:                              ;   in Loop: Header=BB21_9 Depth=1
                                        ; implicit-def: $sgpr13
                                        ; implicit-def: $vgpr10
                                        ; implicit-def: $vgpr9
                                        ; implicit-def: $vgpr11
                                        ; implicit-def: $sgpr1
                                        ; implicit-def: $sgpr15
.LBB21_18:                              ;   in Loop: Header=BB21_9 Depth=1
	v_mov_b32_e32 v11, v7
	s_waitcnt vmcnt(0)
	v_dual_mov_b32 v9, v8 :: v_dual_mov_b32 v10, v3
	s_add_i32 s1, s14, -1
	s_mov_b32 s13, 0
	s_mov_b32 s15, s16
.LBB21_19:                              ;   in Loop: Header=BB21_9 Depth=1
	s_and_not1_b32 vcc_lo, exec_lo, s13
	s_cbranch_vccz .LBB21_23
; %bb.20:                               ;   in Loop: Header=BB21_9 Depth=1
	v_dual_mov_b32 v7, v11 :: v_dual_mov_b32 v8, v9
	s_waitcnt vmcnt(0)
	v_mov_b32_e32 v3, v10
	s_mov_b32 s16, s15
	s_mov_b32 s14, s1
	s_branch .LBB21_9
.LBB21_21:
                                        ; implicit-def: $sgpr16_sgpr17
	s_load_b128 s[8:11], s[0:1], 0x44
	s_branch .LBB21_2
.LBB21_22:
                                        ; implicit-def: $sgpr18_sgpr19
	s_branch .LBB21_5
.LBB21_23:
	v_div_scale_f32 v0, null, v11, v11, v10
	s_waitcnt vmcnt(0)
	s_delay_alu instid0(VALU_DEP_1) | instskip(SKIP_2) | instid1(VALU_DEP_1)
	v_rcp_f32_e32 v3, v0
	s_waitcnt_depctr 0xfff
	v_fma_f32 v4, -v0, v3, 1.0
	v_fmac_f32_e32 v3, v4, v3
	v_div_scale_f32 v4, vcc_lo, v10, v11, v10
	s_delay_alu instid0(VALU_DEP_1) | instskip(NEXT) | instid1(VALU_DEP_1)
	v_mul_f32_e32 v5, v4, v3
	v_fma_f32 v6, -v0, v5, v4
	s_delay_alu instid0(VALU_DEP_1) | instskip(NEXT) | instid1(VALU_DEP_1)
	v_fmac_f32_e32 v5, v6, v3
	v_fma_f32 v0, -v0, v5, v4
	s_delay_alu instid0(VALU_DEP_1) | instskip(NEXT) | instid1(VALU_DEP_1)
	v_div_fmas_f32 v0, v0, v3, v5
	v_div_fixup_f32 v0, v0, v11, v10
	global_store_b32 v[1:2], v0, off
.LBB21_24:
	s_nop 0
	s_sendmsg sendmsg(MSG_DEALLOC_VGPRS)
	s_endpgm
	.section	.rodata,"a",@progbits
	.p2align	6, 0x0
	.amdhsa_kernel _ZL33flash_attn_stream_k_fixup_generalILi128ELi2ELi1EEvPfPK15HIP_vector_typeIfLj2EEiiiiS1_IjLj3EES5_S5_S5_
		.amdhsa_group_segment_fixed_size 0
		.amdhsa_private_segment_fixed_size 0
		.amdhsa_kernarg_size 336
		.amdhsa_user_sgpr_count 13
		.amdhsa_user_sgpr_dispatch_ptr 0
		.amdhsa_user_sgpr_queue_ptr 0
		.amdhsa_user_sgpr_kernarg_segment_ptr 1
		.amdhsa_user_sgpr_dispatch_id 0
		.amdhsa_user_sgpr_private_segment_size 0
		.amdhsa_wavefront_size32 1
		.amdhsa_uses_dynamic_stack 0
		.amdhsa_enable_private_segment 0
		.amdhsa_system_sgpr_workgroup_id_x 1
		.amdhsa_system_sgpr_workgroup_id_y 1
		.amdhsa_system_sgpr_workgroup_id_z 1
		.amdhsa_system_sgpr_workgroup_info 0
		.amdhsa_system_vgpr_workitem_id 0
		.amdhsa_next_free_vgpr 19
		.amdhsa_next_free_sgpr 32
		.amdhsa_reserve_vcc 1
		.amdhsa_float_round_mode_32 0
		.amdhsa_float_round_mode_16_64 0
		.amdhsa_float_denorm_mode_32 3
		.amdhsa_float_denorm_mode_16_64 3
		.amdhsa_dx10_clamp 1
		.amdhsa_ieee_mode 1
		.amdhsa_fp16_overflow 0
		.amdhsa_workgroup_processor_mode 1
		.amdhsa_memory_ordered 1
		.amdhsa_forward_progress 0
		.amdhsa_shared_vgpr_count 0
		.amdhsa_exception_fp_ieee_invalid_op 0
		.amdhsa_exception_fp_denorm_src 0
		.amdhsa_exception_fp_ieee_div_zero 0
		.amdhsa_exception_fp_ieee_overflow 0
		.amdhsa_exception_fp_ieee_underflow 0
		.amdhsa_exception_fp_ieee_inexact 0
		.amdhsa_exception_int_div_zero 0
	.end_amdhsa_kernel
	.section	.text._ZL33flash_attn_stream_k_fixup_generalILi128ELi2ELi1EEvPfPK15HIP_vector_typeIfLj2EEiiiiS1_IjLj3EES5_S5_S5_,"axG",@progbits,_ZL33flash_attn_stream_k_fixup_generalILi128ELi2ELi1EEvPfPK15HIP_vector_typeIfLj2EEiiiiS1_IjLj3EES5_S5_S5_,comdat
.Lfunc_end21:
	.size	_ZL33flash_attn_stream_k_fixup_generalILi128ELi2ELi1EEvPfPK15HIP_vector_typeIfLj2EEiiiiS1_IjLj3EES5_S5_S5_, .Lfunc_end21-_ZL33flash_attn_stream_k_fixup_generalILi128ELi2ELi1EEvPfPK15HIP_vector_typeIfLj2EEiiiiS1_IjLj3EES5_S5_S5_
                                        ; -- End function
	.section	.AMDGPU.csdata,"",@progbits
; Kernel info:
; codeLenInByte = 3220
; NumSgprs: 34
; NumVgprs: 19
; ScratchSize: 0
; MemoryBound: 0
; FloatMode: 240
; IeeeMode: 1
; LDSByteSize: 0 bytes/workgroup (compile time only)
; SGPRBlocks: 4
; VGPRBlocks: 2
; NumSGPRsForWavesPerEU: 34
; NumVGPRsForWavesPerEU: 19
; Occupancy: 16
; WaveLimiterHint : 0
; COMPUTE_PGM_RSRC2:SCRATCH_EN: 0
; COMPUTE_PGM_RSRC2:USER_SGPR: 13
; COMPUTE_PGM_RSRC2:TRAP_HANDLER: 0
; COMPUTE_PGM_RSRC2:TGID_X_EN: 1
; COMPUTE_PGM_RSRC2:TGID_Y_EN: 1
; COMPUTE_PGM_RSRC2:TGID_Z_EN: 1
; COMPUTE_PGM_RSRC2:TIDIG_COMP_CNT: 0
	.section	.text._ZL18flash_attn_ext_vecILi128ELi2EL9ggml_type30ELS0_1ELb1EEvPKcS2_S2_S2_S2_PKiPfP15HIP_vector_typeIfLj2EEffffjfiS6_IjLj3EEiiiiiiiiiiiliiliiiiil,"axG",@progbits,_ZL18flash_attn_ext_vecILi128ELi2EL9ggml_type30ELS0_1ELb1EEvPKcS2_S2_S2_S2_PKiPfP15HIP_vector_typeIfLj2EEffffjfiS6_IjLj3EEiiiiiiiiiiiliiliiiiil,comdat
	.globl	_ZL18flash_attn_ext_vecILi128ELi2EL9ggml_type30ELS0_1ELb1EEvPKcS2_S2_S2_S2_PKiPfP15HIP_vector_typeIfLj2EEffffjfiS6_IjLj3EEiiiiiiiiiiiliiliiiiil ; -- Begin function _ZL18flash_attn_ext_vecILi128ELi2EL9ggml_type30ELS0_1ELb1EEvPKcS2_S2_S2_S2_PKiPfP15HIP_vector_typeIfLj2EEffffjfiS6_IjLj3EEiiiiiiiiiiiliiliiiiil
	.p2align	8
	.type	_ZL18flash_attn_ext_vecILi128ELi2EL9ggml_type30ELS0_1ELb1EEvPKcS2_S2_S2_S2_PKiPfP15HIP_vector_typeIfLj2EEffffjfiS6_IjLj3EEiiiiiiiiiiiliiliiiiil,@function
_ZL18flash_attn_ext_vecILi128ELi2EL9ggml_type30ELS0_1ELb1EEvPKcS2_S2_S2_S2_PKiPfP15HIP_vector_typeIfLj2EEffffjfiS6_IjLj3EEiiiiiiiiiiiliiliiiiil: ; @_ZL18flash_attn_ext_vecILi128ELi2EL9ggml_type30ELS0_1ELb1EEvPKcS2_S2_S2_S2_PKiPfP15HIP_vector_typeIfLj2EEffffjfiS6_IjLj3EEiiiiiiiiiiiliiliiiiil
; %bb.0:
	s_clause 0x4
	s_load_b64 s[34:35], s[0:1], 0x64
	s_load_b64 s[42:43], s[0:1], 0x80
	;; [unrolled: 1-line block ×3, first 2 shown]
	s_load_b128 s[8:11], s[0:1], 0x40
	s_load_b64 s[40:41], s[0:1], 0x50
	v_mov_b32_e32 v16, 1.0
	s_waitcnt lgkmcnt(0)
	v_cvt_f32_u32_e32 v1, s35
	s_sub_i32 s3, 0, s35
	s_delay_alu instid0(VALU_DEP_1) | instskip(SKIP_2) | instid1(VALU_DEP_1)
	v_rcp_iflag_f32_e32 v1, v1
	s_waitcnt_depctr 0xfff
	v_mul_f32_e32 v1, 0x4f7ffffe, v1
	v_cvt_u32_f32_e32 v1, v1
	s_delay_alu instid0(VALU_DEP_1) | instskip(NEXT) | instid1(VALU_DEP_1)
	v_readfirstlane_b32 s2, v1
	s_mul_i32 s3, s3, s2
	s_delay_alu instid0(SALU_CYCLE_1) | instskip(NEXT) | instid1(SALU_CYCLE_1)
	s_mul_hi_u32 s3, s2, s3
	s_add_i32 s2, s2, s3
	s_delay_alu instid0(SALU_CYCLE_1) | instskip(NEXT) | instid1(SALU_CYCLE_1)
	s_mul_hi_u32 s2, s15, s2
	s_mul_i32 s3, s2, s35
	s_add_i32 s4, s2, 1
	s_sub_i32 s3, s15, s3
	s_delay_alu instid0(SALU_CYCLE_1)
	s_sub_i32 s5, s3, s35
	s_cmp_ge_u32 s3, s35
	s_cselect_b32 s2, s4, s2
	s_cselect_b32 s3, s5, s3
	s_add_i32 s4, s2, 1
	s_cmp_ge_u32 s3, s35
	s_cselect_b32 s33, s4, s2
	s_abs_i32 s2, s43
	s_abs_i32 s6, s35
	v_cvt_f32_u32_e32 v1, s2
	s_sub_i32 s4, 0, s2
	s_xor_b32 s5, s35, s43
	s_delay_alu instid0(SALU_CYCLE_1) | instskip(NEXT) | instid1(VALU_DEP_1)
	s_ashr_i32 s5, s5, 31
	v_rcp_iflag_f32_e32 v1, v1
	s_waitcnt_depctr 0xfff
	v_mul_f32_e32 v1, 0x4f7ffffe, v1
	s_delay_alu instid0(VALU_DEP_1) | instskip(NEXT) | instid1(VALU_DEP_1)
	v_cvt_u32_f32_e32 v1, v1
	v_readfirstlane_b32 s3, v1
	s_delay_alu instid0(VALU_DEP_1) | instskip(NEXT) | instid1(SALU_CYCLE_1)
	s_mul_i32 s4, s4, s3
	s_mul_hi_u32 s4, s3, s4
	s_delay_alu instid0(SALU_CYCLE_1) | instskip(SKIP_4) | instid1(SALU_CYCLE_1)
	s_add_i32 s3, s3, s4
	s_mul_i32 s4, s33, s35
	s_mul_hi_u32 s3, s6, s3
	s_sub_i32 s12, s15, s4
	s_mul_i32 s7, s3, s2
	s_sub_i32 s4, s6, s7
	s_add_i32 s6, s3, 1
	s_sub_i32 s7, s4, s2
	s_cmp_ge_u32 s4, s2
	s_cselect_b32 s3, s6, s3
	s_cselect_b32 s4, s7, s4
	s_add_i32 s6, s3, 1
	s_cmp_ge_u32 s4, s2
	s_cselect_b32 s2, s6, s3
	s_abs_i32 s44, s44
	s_xor_b32 s2, s2, s5
	v_cvt_f32_u32_e32 v1, s44
	s_sub_i32 s36, s2, s5
	v_cmp_le_f32_e64 s2, s9, 0
	s_abs_i32 s47, s36
	s_delay_alu instid0(SALU_CYCLE_1) | instskip(SKIP_1) | instid1(VALU_DEP_2)
	v_cvt_f32_u32_e32 v2, s47
	v_rcp_iflag_f32_e32 v1, v1
	s_and_b32 vcc_lo, exec_lo, s2
	s_delay_alu instid0(VALU_DEP_1) | instskip(SKIP_2) | instid1(VALU_DEP_1)
	v_rcp_iflag_f32_e32 v2, v2
	s_waitcnt_depctr 0xfff
	v_dual_mul_f32 v1, 0x4f7ffffe, v1 :: v_dual_mul_f32 v2, 0x4f7ffffe, v2
	v_cvt_u32_f32_e32 v1, v1
	s_delay_alu instid0(VALU_DEP_2) | instskip(NEXT) | instid1(VALU_DEP_2)
	v_cvt_u32_f32_e32 v2, v2
	v_readfirstlane_b32 s9, v1
	s_delay_alu instid0(VALU_DEP_2)
	v_readfirstlane_b32 s37, v2
	s_cbranch_vccnz .LBB22_2
; %bb.1:
	s_sub_i32 s2, s12, s40
	s_add_i32 s3, s12, 1
	s_lshl_b32 s2, s2, 1
	v_mov_b32_e32 v1, s10
	s_or_b32 s2, s2, 1
	s_cmp_lt_u32 s12, s40
	s_cselect_b32 vcc_lo, -1, 0
	s_delay_alu instid0(VALU_DEP_1)
	v_cndmask_b32_e32 v3, s11, v1, vcc_lo
	s_and_b32 s4, vcc_lo, exec_lo
	s_cselect_b32 s2, s3, s2
	s_mov_b32 s3, 0x3e76c4e1
	v_cvt_f32_i32_e32 v1, s2
	v_cmp_neq_f32_e32 vcc_lo, 1.0, v3
	s_delay_alu instid0(VALU_DEP_2) | instskip(NEXT) | instid1(VALU_DEP_1)
	v_cndmask_b32_e32 v4, 1.0, v1, vcc_lo
	v_cmp_eq_f32_e32 vcc_lo, 0, v4
	v_cndmask_b32_e64 v5, |v3|, 1.0, vcc_lo
	s_delay_alu instid0(VALU_DEP_1) | instskip(NEXT) | instid1(VALU_DEP_1)
	v_frexp_mant_f32_e32 v1, v5
	v_cmp_gt_f32_e64 s2, 0x3f2aaaab, v1
	s_delay_alu instid0(VALU_DEP_1) | instskip(NEXT) | instid1(VALU_DEP_1)
	v_cndmask_b32_e64 v2, 1.0, 2.0, s2
	v_mul_f32_e32 v1, v1, v2
	s_delay_alu instid0(VALU_DEP_1) | instskip(SKIP_1) | instid1(VALU_DEP_2)
	v_add_f32_e32 v2, 1.0, v1
	v_add_f32_e32 v7, -1.0, v1
	v_rcp_f32_e32 v6, v2
	s_waitcnt_depctr 0xfff
	v_mul_f32_e32 v8, v7, v6
	s_delay_alu instid0(VALU_DEP_1) | instskip(NEXT) | instid1(VALU_DEP_1)
	v_dual_add_f32 v9, -1.0, v2 :: v_dual_mul_f32 v10, v2, v8
	v_sub_f32_e32 v1, v1, v9
	v_cndmask_b32_e64 v3, v3, 1.0, vcc_lo
	s_delay_alu instid0(VALU_DEP_3) | instskip(NEXT) | instid1(VALU_DEP_2)
	v_fma_f32 v2, v8, v2, -v10
	v_cmp_eq_f32_e64 s4, 0, v3
	s_delay_alu instid0(VALU_DEP_2) | instskip(NEXT) | instid1(VALU_DEP_1)
	v_fmac_f32_e32 v2, v8, v1
	v_add_f32_e32 v1, v10, v2
	s_delay_alu instid0(VALU_DEP_1) | instskip(NEXT) | instid1(VALU_DEP_1)
	v_dual_sub_f32 v10, v1, v10 :: v_dual_sub_f32 v9, v7, v1
	v_dual_sub_f32 v2, v10, v2 :: v_dual_sub_f32 v7, v7, v9
	s_delay_alu instid0(VALU_DEP_1) | instskip(NEXT) | instid1(VALU_DEP_1)
	v_sub_f32_e32 v1, v7, v1
	v_add_f32_e32 v1, v2, v1
	s_delay_alu instid0(VALU_DEP_1) | instskip(NEXT) | instid1(VALU_DEP_1)
	v_add_f32_e32 v1, v9, v1
	v_mul_f32_e32 v1, v6, v1
	s_delay_alu instid0(VALU_DEP_1) | instskip(NEXT) | instid1(VALU_DEP_1)
	v_add_f32_e32 v6, v8, v1
	v_sub_f32_e32 v2, v6, v8
	v_mul_f32_e32 v7, v6, v6
	s_delay_alu instid0(VALU_DEP_2) | instskip(NEXT) | instid1(VALU_DEP_2)
	v_sub_f32_e32 v8, v1, v2
	v_fma_f32 v9, v6, v6, -v7
	s_delay_alu instid0(VALU_DEP_2) | instskip(NEXT) | instid1(VALU_DEP_1)
	v_add_f32_e32 v1, v8, v8
	v_fmac_f32_e32 v9, v6, v1
	v_cvt_f64_f32_e32 v[1:2], v5
	s_delay_alu instid0(VALU_DEP_2) | instskip(NEXT) | instid1(VALU_DEP_1)
	v_add_f32_e32 v10, v7, v9
	v_fmaak_f32 v11, s3, v10, 0x3e91f4c4
	v_sub_f32_e32 v7, v10, v7
	v_mul_f32_e32 v14, v6, v10
	s_delay_alu instid0(VALU_DEP_3) | instskip(NEXT) | instid1(VALU_DEP_3)
	v_fmaak_f32 v11, v10, v11, 0x3ecccdef
	v_sub_f32_e32 v7, v9, v7
	s_delay_alu instid0(VALU_DEP_2) | instskip(NEXT) | instid1(VALU_DEP_1)
	v_mul_f32_e32 v12, v10, v11
	v_fma_f32 v9, v10, v11, -v12
	s_delay_alu instid0(VALU_DEP_1) | instskip(NEXT) | instid1(VALU_DEP_1)
	v_fmac_f32_e32 v9, v7, v11
	v_add_f32_e32 v11, v12, v9
	v_frexp_exp_i32_f64_e32 v1, v[1:2]
	s_delay_alu instid0(VALU_DEP_2) | instskip(NEXT) | instid1(VALU_DEP_1)
	v_sub_f32_e32 v12, v11, v12
	v_sub_f32_e32 v2, v9, v12
	v_fma_f32 v12, v10, v6, -v14
	s_delay_alu instid0(VALU_DEP_2) | instskip(NEXT) | instid1(VALU_DEP_2)
	v_add_f32_e32 v2, 0x31739010, v2
	v_dual_add_f32 v13, 0x3f2aaaaa, v11 :: v_dual_fmac_f32 v12, v10, v8
	v_ldexp_f32 v8, v8, 1
	s_delay_alu instid0(VALU_DEP_2) | instskip(NEXT) | instid1(VALU_DEP_1)
	v_dual_add_f32 v9, 0xbf2aaaaa, v13 :: v_dual_fmac_f32 v12, v7, v6
	v_sub_f32_e32 v9, v11, v9
	s_delay_alu instid0(VALU_DEP_1) | instskip(NEXT) | instid1(VALU_DEP_3)
	v_add_f32_e32 v2, v2, v9
	v_add_f32_e32 v9, v14, v12
	s_delay_alu instid0(VALU_DEP_2) | instskip(NEXT) | instid1(VALU_DEP_1)
	v_add_f32_e32 v7, v13, v2
	v_sub_f32_e32 v10, v13, v7
	s_delay_alu instid0(VALU_DEP_3) | instskip(SKIP_2) | instid1(VALU_DEP_4)
	v_mul_f32_e32 v11, v9, v7
	v_sub_f32_e32 v13, v9, v14
	v_subrev_co_ci_u32_e64 v1, s2, 0, v1, s2
	v_add_f32_e32 v2, v2, v10
	s_delay_alu instid0(VALU_DEP_4) | instskip(NEXT) | instid1(VALU_DEP_4)
	v_fma_f32 v10, v9, v7, -v11
	v_sub_f32_e32 v12, v12, v13
	s_delay_alu instid0(VALU_DEP_4) | instskip(NEXT) | instid1(VALU_DEP_3)
	v_cvt_f32_i32_e32 v1, v1
	v_fmac_f32_e32 v10, v9, v2
	v_ldexp_f32 v2, v6, 1
	s_delay_alu instid0(VALU_DEP_2) | instskip(NEXT) | instid1(VALU_DEP_1)
	v_fmac_f32_e32 v10, v12, v7
	v_add_f32_e32 v6, v11, v10
	s_delay_alu instid0(VALU_DEP_1) | instskip(NEXT) | instid1(VALU_DEP_1)
	v_add_f32_e32 v7, v2, v6
	v_dual_sub_f32 v2, v7, v2 :: v_dual_sub_f32 v9, v6, v11
	s_delay_alu instid0(VALU_DEP_1) | instskip(NEXT) | instid1(VALU_DEP_2)
	v_sub_f32_e32 v2, v6, v2
	v_sub_f32_e32 v9, v10, v9
	s_delay_alu instid0(VALU_DEP_1) | instskip(NEXT) | instid1(VALU_DEP_1)
	v_add_f32_e32 v6, v8, v9
	v_dual_mul_f32 v11, 0x3f317218, v1 :: v_dual_add_f32 v2, v6, v2
	s_delay_alu instid0(VALU_DEP_1) | instskip(NEXT) | instid1(VALU_DEP_2)
	v_fma_f32 v10, 0x3f317218, v1, -v11
	v_add_f32_e32 v8, v7, v2
	s_delay_alu instid0(VALU_DEP_1) | instskip(NEXT) | instid1(VALU_DEP_1)
	v_sub_f32_e32 v7, v8, v7
	v_dual_fmamk_f32 v1, v1, 0xb102e308, v10 :: v_dual_sub_f32 v2, v2, v7
	s_delay_alu instid0(VALU_DEP_1) | instskip(NEXT) | instid1(VALU_DEP_1)
	v_add_f32_e32 v6, v11, v1
	v_add_f32_e32 v9, v6, v8
	s_delay_alu instid0(VALU_DEP_1) | instskip(NEXT) | instid1(VALU_DEP_1)
	v_dual_sub_f32 v11, v6, v11 :: v_dual_sub_f32 v10, v9, v6
	v_sub_f32_e32 v12, v9, v10
	s_delay_alu instid0(VALU_DEP_2) | instskip(NEXT) | instid1(VALU_DEP_2)
	v_sub_f32_e32 v1, v1, v11
	v_dual_sub_f32 v7, v8, v10 :: v_dual_sub_f32 v6, v6, v12
	s_delay_alu instid0(VALU_DEP_2) | instskip(NEXT) | instid1(VALU_DEP_2)
	v_add_f32_e32 v8, v1, v2
	v_add_f32_e32 v6, v7, v6
	s_delay_alu instid0(VALU_DEP_1) | instskip(NEXT) | instid1(VALU_DEP_1)
	v_add_f32_e32 v6, v8, v6
	v_dual_sub_f32 v7, v8, v1 :: v_dual_add_f32 v10, v9, v6
	s_delay_alu instid0(VALU_DEP_1) | instskip(SKIP_1) | instid1(VALU_DEP_3)
	v_sub_f32_e32 v8, v8, v7
	v_sub_f32_e32 v2, v2, v7
	;; [unrolled: 1-line block ×3, first 2 shown]
	s_delay_alu instid0(VALU_DEP_3) | instskip(NEXT) | instid1(VALU_DEP_1)
	v_sub_f32_e32 v1, v1, v8
	v_add_f32_e32 v1, v2, v1
	s_delay_alu instid0(VALU_DEP_3) | instskip(NEXT) | instid1(VALU_DEP_1)
	v_sub_f32_e32 v2, v6, v7
	v_add_f32_e32 v1, v1, v2
	s_delay_alu instid0(VALU_DEP_1) | instskip(NEXT) | instid1(VALU_DEP_1)
	v_add_f32_e32 v2, v10, v1
	v_mul_f32_e32 v7, v4, v2
	v_sub_f32_e32 v6, v2, v10
	s_delay_alu instid0(VALU_DEP_2) | instskip(NEXT) | instid1(VALU_DEP_2)
	v_fma_f32 v2, v4, v2, -v7
	v_sub_f32_e32 v1, v1, v6
	v_cmp_class_f32_e64 s2, v7, 0x204
	s_delay_alu instid0(VALU_DEP_2) | instskip(NEXT) | instid1(VALU_DEP_1)
	v_fmac_f32_e32 v2, v4, v1
	v_add_f32_e32 v1, v7, v2
	s_delay_alu instid0(VALU_DEP_1) | instskip(NEXT) | instid1(VALU_DEP_1)
	v_cndmask_b32_e64 v6, v1, v7, s2
	v_cmp_eq_f32_e64 s2, 0x42b17218, v6
	s_delay_alu instid0(VALU_DEP_1) | instskip(SKIP_1) | instid1(VALU_DEP_2)
	v_cndmask_b32_e64 v8, 0, 0x37000000, s2
	v_cmp_neq_f32_e64 s2, 0x7f800000, |v6|
	v_sub_f32_e32 v9, v6, v8
	v_trunc_f32_e32 v6, v4
	s_delay_alu instid0(VALU_DEP_2) | instskip(NEXT) | instid1(VALU_DEP_1)
	v_mul_f32_e32 v10, 0x3fb8aa3b, v9
	v_fma_f32 v11, 0x3fb8aa3b, v9, -v10
	v_rndne_f32_e32 v12, v10
	s_delay_alu instid0(VALU_DEP_1) | instskip(NEXT) | instid1(VALU_DEP_1)
	v_dual_fmamk_f32 v11, v9, 0x32a5705f, v11 :: v_dual_sub_f32 v10, v10, v12
	v_add_f32_e32 v10, v10, v11
	v_sub_f32_e32 v1, v1, v7
	v_cvt_i32_f32_e32 v7, v12
	s_delay_alu instid0(VALU_DEP_3) | instskip(NEXT) | instid1(VALU_DEP_2)
	v_exp_f32_e32 v10, v10
	v_sub_f32_e32 v1, v2, v1
	s_delay_alu instid0(VALU_DEP_1)
	v_cndmask_b32_e64 v1, 0, v1, s2
	v_cmp_ngt_f32_e64 s2, 0xc2ce8ed0, v9
	s_waitcnt_depctr 0xfff
	v_ldexp_f32 v2, v10, v7
	v_mul_f32_e32 v7, 0.5, v4
	v_add_f32_e32 v1, v8, v1
	s_delay_alu instid0(VALU_DEP_3) | instskip(NEXT) | instid1(VALU_DEP_3)
	v_cndmask_b32_e64 v2, 0, v2, s2
	v_trunc_f32_e32 v10, v7
	v_cmp_nlt_f32_e64 s2, 0x42b17218, v9
	s_delay_alu instid0(VALU_DEP_2) | instskip(NEXT) | instid1(VALU_DEP_2)
	v_cmp_neq_f32_e64 s3, v10, v7
	v_cndmask_b32_e64 v2, 0x7f800000, v2, s2
	v_cmp_eq_f32_e64 s2, v6, v4
	s_delay_alu instid0(VALU_DEP_2) | instskip(NEXT) | instid1(VALU_DEP_2)
	v_fma_f32 v1, v2, v1, v2
	s_and_b32 vcc_lo, s2, s3
	v_cmp_class_f32_e64 s3, v2, 0x204
	v_cndmask_b32_e32 v6, 1.0, v3, vcc_lo
	s_delay_alu instid0(VALU_DEP_2) | instskip(SKIP_1) | instid1(VALU_DEP_2)
	v_cndmask_b32_e64 v1, v1, v2, s3
	v_cmp_gt_f32_e64 s3, 0, v4
	v_bfi_b32 v1, 0x7fffffff, v1, v6
	s_delay_alu instid0(VALU_DEP_2)
	s_xor_b32 s3, s3, s4
	v_cndmask_b32_e32 v6, 0, v3, vcc_lo
	v_cndmask_b32_e64 v2, 0x7f800000, 0, s3
	v_cmp_eq_f32_e32 vcc_lo, 0x7f800000, v5
	v_cndmask_b32_e64 v4, 0x7fc00000, v1, s2
	v_cmp_gt_f32_e64 s2, 0, v3
	s_delay_alu instid0(VALU_DEP_4) | instskip(SKIP_1) | instid1(VALU_DEP_2)
	v_bfi_b32 v2, 0x7fffffff, v2, v6
	s_or_b32 vcc_lo, vcc_lo, s4
	v_cndmask_b32_e64 v1, v1, v4, s2
	s_delay_alu instid0(VALU_DEP_1) | instskip(SKIP_1) | instid1(VALU_DEP_2)
	v_cndmask_b32_e32 v1, v1, v2, vcc_lo
	v_cmp_o_f32_e32 vcc_lo, v3, v3
	v_cndmask_b32_e32 v16, 0x7fc00000, v1, vcc_lo
.LBB22_2:
	s_clause 0x1
	s_load_b128 s[4:7], s[0:1], 0x70
	s_load_b512 s[16:31], s[0:1], 0x0
	v_dual_mov_b32 v1, 0 :: v_dual_and_b32 v8, 0x3ff, v0
	s_lshl_b32 s15, s13, 1
	s_mov_b32 s48, 0
	v_dual_mov_b32 v19, 0 :: v_dual_mov_b32 v20, 0
	s_delay_alu instid0(VALU_DEP_2)
	v_dual_mov_b32 v2, v1 :: v_dual_lshlrev_b32 v9, 2, v8
	s_mov_b32 s49, s48
	s_mov_b32 s50, s48
	;; [unrolled: 1-line block ×3, first 2 shown]
	v_dual_mov_b32 v4, s48 :: v_dual_mov_b32 v5, s49
	v_dual_mov_b32 v6, s50 :: v_dual_mov_b32 v7, s51
	v_dual_mov_b32 v3, v1 :: v_dual_and_b32 v14, 28, v9
	v_dual_mov_b32 v18, 0 :: v_dual_mov_b32 v21, 0
	s_waitcnt lgkmcnt(0)
	s_mul_i32 s2, s33, s6
	s_mul_i32 s3, s15, s4
	;; [unrolled: 1-line block ×3, first 2 shown]
	s_add_i32 s2, s2, s3
	s_clause 0x1
	scratch_store_b32 off, v1, off
	scratch_store_b128 off, v[4:7], off offset:4
	s_add_i32 s2, s2, s5
	s_clause 0x1
	scratch_store_b128 off, v[4:7], off offset:20
	scratch_store_b128 off, v[4:7], off offset:36
	s_ashr_i32 s3, s2, 31
	s_add_u32 s2, s16, s2
	s_addc_u32 s3, s17, s3
	s_cmp_lt_i32 s15, s34
	v_dual_mov_b32 v25, 0 :: v_dual_lshlrev_b32 v6, 3, v14
	s_cselect_b32 s46, -1, 0
	s_cmp_ge_i32 s15, s34
	v_dual_mov_b32 v24, 0 :: v_dual_mov_b32 v23, 0
	v_mov_b32_e32 v22, 0
	s_cselect_b32 s40, -1, 0
	scratch_store_b96 off, v[1:3], off offset:52
	s_and_b32 vcc_lo, exec_lo, s40
	s_cbranch_vccnz .LBB22_4
; %bb.3:
	s_clause 0x1
	global_load_b128 v[2:5], v6, s[2:3]
	global_load_b128 v[10:13], v6, s[2:3] offset:16
	s_waitcnt vmcnt(1)
	v_cvt_f16_f32_e32 v19, v2
	v_cvt_f16_f32_e32 v20, v3
	;; [unrolled: 1-line block ×4, first 2 shown]
	s_waitcnt vmcnt(0)
	v_cvt_f16_f32_e32 v24, v10
	v_cvt_f16_f32_e32 v25, v11
	;; [unrolled: 1-line block ×4, first 2 shown]
.LBB22_4:
	v_dual_mov_b32 v26, 0 :: v_dual_mov_b32 v27, 0
	v_dual_mov_b32 v28, 0 :: v_dual_mov_b32 v29, 0
	;; [unrolled: 1-line block ×3, first 2 shown]
	v_mov_b32_e32 v4, 0
	s_and_not1_b32 vcc_lo, exec_lo, s46
	s_cbranch_vccnz .LBB22_6
; %bb.5:
	s_clause 0x1
	global_load_b128 v[1:4], v6, s[2:3] offset:256
	global_load_b128 v[10:13], v6, s[2:3] offset:272
	s_waitcnt vmcnt(1)
	v_cvt_f16_f32_e32 v1, v1
	v_cvt_f16_f32_e32 v26, v2
	;; [unrolled: 1-line block ×4, first 2 shown]
	s_waitcnt vmcnt(0)
	v_cvt_f16_f32_e32 v29, v10
	v_cvt_f16_f32_e32 v30, v11
	;; [unrolled: 1-line block ×4, first 2 shown]
.LBB22_6:
	s_ashr_i32 s5, s4, 31
	s_add_u32 s2, s2, s4
	s_addc_u32 s3, s3, s5
	s_or_b32 s4, s15, 1
	v_dual_mov_b32 v31, 0 :: v_dual_mov_b32 v32, 0
	v_dual_mov_b32 v33, 0 :: v_dual_mov_b32 v34, 0
	;; [unrolled: 1-line block ×4, first 2 shown]
	v_mov_b32_e32 v39, 0
	s_cmp_lt_i32 s4, s34
	s_cselect_b32 s48, -1, 0
	s_cmp_ge_i32 s4, s34
	s_cbranch_scc1 .LBB22_8
; %bb.7:
	s_clause 0x1
	global_load_b128 v[10:13], v6, s[2:3]
	global_load_b128 v[36:39], v6, s[2:3] offset:16
	s_waitcnt vmcnt(1)
	v_cvt_f16_f32_e32 v32, v10
	v_cvt_f16_f32_e32 v33, v11
	v_cvt_f16_f32_e32 v34, v12
	v_cvt_f16_f32_e32 v35, v13
	s_waitcnt vmcnt(0)
	v_cvt_f16_f32_e32 v36, v36
	v_cvt_f16_f32_e32 v37, v37
	v_cvt_f16_f32_e32 v38, v38
	v_cvt_f16_f32_e32 v39, v39
.LBB22_8:
	v_cndmask_b32_e64 v13, 0, 1, s48
	v_dual_mov_b32 v40, 0 :: v_dual_mov_b32 v41, 0
	v_dual_mov_b32 v42, 0 :: v_dual_mov_b32 v43, 0
	v_dual_mov_b32 v44, 0 :: v_dual_mov_b32 v45, 0
	v_mov_b32_e32 v46, 0
	s_and_not1_b32 vcc_lo, exec_lo, s48
	s_cbranch_vccnz .LBB22_10
; %bb.9:
	s_clause 0x1
	global_load_b128 v[40:43], v6, s[2:3] offset:256
	global_load_b128 v[44:47], v6, s[2:3] offset:272
	s_waitcnt vmcnt(1)
	v_cvt_f16_f32_e32 v31, v40
	v_cvt_f16_f32_e32 v40, v41
	;; [unrolled: 1-line block ×4, first 2 shown]
	s_waitcnt vmcnt(0)
	v_cvt_f16_f32_e32 v43, v44
	v_cvt_f16_f32_e32 v44, v45
	;; [unrolled: 1-line block ×4, first 2 shown]
.LBB22_10:
	s_cmp_eq_u64 s[26:27], 0
	s_mov_b32 s43, s42
	s_cbranch_scc1 .LBB22_12
; %bb.11:
	s_load_b32 s2, s[0:1], 0xd0
	s_mov_b32 s3, 0
	s_waitcnt lgkmcnt(0)
	s_mul_i32 s2, s2, s33
	s_delay_alu instid0(SALU_CYCLE_1) | instskip(NEXT) | instid1(SALU_CYCLE_1)
	s_add_i32 s2, s2, s13
	s_lshl_b64 s[2:3], s[2:3], 2
	s_delay_alu instid0(SALU_CYCLE_1)
	s_add_u32 s2, s26, s2
	s_addc_u32 s3, s27, s3
	s_load_b32 s43, s[2:3], 0x0
.LBB22_12:
	v_bfe_u32 v12, v0, 10, 10
	s_mov_b32 s17, 0
	s_mov_b32 s2, 0xfeffffff
	;; [unrolled: 1-line block ×4, first 2 shown]
	v_dual_mov_b32 v2, s16 :: v_dual_lshlrev_b32 v17, 5, v12
	v_dual_mov_b32 v7, s3 :: v_dual_mov_b32 v6, s2
	v_mbcnt_lo_u32_b32 v15, -1, 0
	s_delay_alu instid0(VALU_DEP_3) | instskip(SKIP_3) | instid1(VALU_DEP_1)
	v_dual_mov_b32 v3, s17 :: v_dual_add_nc_u32 v10, v17, v8
	s_lshl_b32 s10, s14, 7
	s_waitcnt lgkmcnt(0)
	s_cmp_ge_i32 s10, s43
	v_lshlrev_b32_e32 v11, 1, v10
	s_cbranch_scc1 .LBB22_112
; %bb.13:
	s_sub_i32 s2, 0, s47
	s_abs_i32 s4, s12
	s_mul_i32 s2, s2, s37
	s_ashr_i32 s5, s36, 31
	s_mul_hi_u32 s2, s37, s2
	s_sub_i32 s3, 0, s44
	s_add_i32 s37, s37, s2
	s_mul_i32 s3, s3, s9
	s_mul_hi_u32 s2, s4, s37
	s_clause 0x1
	s_load_b64 s[26:27], s[0:1], 0x8c
	s_load_b128 s[36:39], s[0:1], 0x98
	s_mul_hi_u32 s3, s9, s3
	s_abs_i32 s6, s33
	s_add_i32 s9, s9, s3
	v_cvt_f16_f32_e32 v7, s8
	s_mul_hi_u32 s7, s6, s9
	s_ashr_i32 s9, s33, 31
	v_perm_b32 v2, v35, v34, 0x5040100
	s_ashr_i32 s3, s12, 31
	v_perm_b32 v0, v33, v32, 0x5040100
	v_perm_b32 v32, v42, v41, 0x5040100
	s_xor_b32 s3, s3, s5
	v_pk_mul_f16 v42, v7, v2 op_sel_hi:[0,1]
	v_perm_b32 v2, v20, v19, 0x5040100
	v_perm_b32 v19, v25, v24, 0x5040100
	s_add_i32 s13, s2, 1
	v_perm_b32 v18, v21, v18, 0x5040100
	v_perm_b32 v1, v26, v1, 0x5040100
	;; [unrolled: 1-line block ×4, first 2 shown]
	s_waitcnt lgkmcnt(0)
	s_mul_i32 s8, s33, s37
	s_mul_hi_u32 s11, s33, s36
	v_pk_mul_f16 v5, v7, v2 op_sel_hi:[0,1]
	s_add_i32 s8, s11, s8
	s_mul_i32 s11, s9, s36
	v_pk_mul_f16 v28, v7, v19 op_sel_hi:[0,1]
	s_add_i32 s8, s8, s11
	s_mul_i32 s11, s2, s47
	v_perm_b32 v3, v37, v36, 0x5040100
	s_sub_i32 s11, s4, s11
	s_load_b64 s[4:5], s[0:1], 0xa8
	s_sub_i32 s16, s11, s47
	s_cmp_ge_u32 s11, s47
	v_perm_b32 v6, v39, v38, 0x5040100
	s_cselect_b32 s2, s13, s2
	s_cselect_b32 s11, s16, s11
	v_perm_b32 v31, v40, v31, 0x5040100
	v_perm_b32 v33, v44, v43, 0x5040100
	;; [unrolled: 1-line block ×3, first 2 shown]
	s_add_i32 s13, s2, 1
	v_perm_b32 v20, v23, v22, 0x5040100
	v_perm_b32 v22, v30, v29, 0x5040100
	s_cmp_ge_u32 s11, s47
	v_pk_mul_f16 v1, v7, v1 op_sel_hi:[0,1]
	s_cselect_b32 s2, s13, s2
	v_lshrrev_b32_e32 v25, 16, v5
	v_cvt_f32_f16_e32 v24, v5
	v_lshrrev_b32_e32 v5, 16, v28
	v_pk_mul_f16 v0, v7, v0 op_sel_hi:[0,1]
	v_pk_mul_f16 v3, v7, v3 op_sel_hi:[0,1]
	;; [unrolled: 1-line block ×7, first 2 shown]
	s_xor_b32 s2, s2, s3
	v_pk_mul_f16 v26, v7, v18 op_sel_hi:[0,1]
	v_pk_mul_f16 v30, v7, v20 op_sel_hi:[0,1]
	;; [unrolled: 1-line block ×5, first 2 shown]
	v_and_b32_e32 v7, 0x78, v8
	s_sub_i32 s11, s2, s3
	v_cvt_f32_f16_e32 v29, v5
	v_lshrrev_b32_e32 v5, 16, v1
	s_mul_i32 s2, s11, s27
	s_mul_i32 s3, s33, s36
	v_add_nc_u32_e32 v18, v17, v7
	s_ashr_i32 s13, s2, 31
	s_add_u32 s3, s18, s3
	s_addc_u32 s8, s19, s8
	s_waitcnt lgkmcnt(0)
	s_mul_i32 s5, s33, s5
	s_mul_hi_u32 s18, s33, s4
	v_cvt_f32_f16_e32 v33, v5
	v_lshrrev_b32_e32 v5, 16, v4
	s_add_u32 s16, s3, s2
	s_addc_u32 s8, s8, s13
	s_add_i32 s5, s18, s5
	s_mul_i32 s13, s9, s4
	s_mul_i32 s11, s11, s39
	v_mul_lo_u32 v22, v18, s26
	s_mul_i32 s4, s33, s4
	s_add_i32 s5, s5, s13
	s_ashr_i32 s13, s11, 31
	s_clause 0x1
	s_load_b64 s[2:3], s[0:1], 0xc8
	s_load_b32 s36, s[0:1], 0xd4
	s_add_u32 s4, s20, s4
	v_cvt_f32_f16_e32 v39, v5
	v_xor_b32_e32 v5, 16, v15
	v_and_b32_e32 v2, 24, v15
	s_addc_u32 s5, s21, s5
	s_mul_i32 s7, s7, s44
	s_add_u32 s4, s4, s11
	s_addc_u32 s5, s5, s13
	s_sub_i32 s6, s6, s7
	v_xor_b32_e32 v19, 4, v15
	s_sub_i32 s7, s6, s44
	v_add_nc_u32_e32 v2, 8, v2
	v_add_nc_u32_e32 v47, s26, v22
	s_cmp_ge_u32 s6, s44
	v_xor_b32_e32 v20, 2, v15
	s_cselect_b32 s6, s7, s6
	v_cmp_lt_i32_e32 vcc_lo, v19, v2
	s_sub_i32 s7, s6, s44
	v_cvt_f32_f16_e32 v32, v1
	v_lshrrev_b32_e32 v1, 16, v36
	v_add_nc_u32_e32 v51, s26, v47
	v_cndmask_b32_e32 v19, v15, v19, vcc_lo
	s_cmp_ge_u32 s6, s44
	v_xor_b32_e32 v7, 1, v15
	s_cselect_b32 s6, s7, s6
	v_cmp_lt_i32_e32 vcc_lo, v20, v2
	s_xor_b32 s6, s6, s9
	v_cvt_f32_f16_e32 v37, v1
	v_lshrrev_b32_e32 v1, 16, v0
	v_cvt_f32_f16_e32 v40, v0
	v_lshrrev_b32_e32 v0, 16, v3
	v_cvt_f32_f16_e32 v44, v3
	v_add_nc_u32_e32 v55, s26, v51
	v_lshrrev_b32_e32 v3, 16, v57
	s_sub_i32 s6, s6, s9
	v_dual_cndmask_b32 v20, v15, v20 :: v_dual_lshlrev_b32 v19, 2, v19
	s_waitcnt lgkmcnt(0)
	s_mul_i32 s3, s6, s3
	s_mul_hi_u32 s7, s6, s2
	s_ashr_i32 s9, s6, 31
	v_cmp_lt_i32_e32 vcc_lo, v7, v2
	v_add_nc_u32_e32 v58, s26, v55
	v_cvt_f32_f16_e32 v59, v3
	v_xor_b32_e32 v3, 8, v15
	s_add_i32 s3, s7, s3
	s_mul_i32 s9, s9, s2
	s_mul_i32 s6, s6, s2
	s_add_i32 s3, s3, s9
	s_add_u32 s2, s22, s6
	s_mul_i32 s6, s15, s45
	v_dual_cndmask_b32 v7, v15, v7 :: v_dual_lshlrev_b32 v20, 2, v20
	v_lshrrev_b32_e32 v72, 3, v8
	v_add_nc_u32_e32 v61, s26, v58
	v_cmp_gt_i32_e32 vcc_lo, 32, v3
	s_addc_u32 s3, s23, s3
	s_ashr_i32 s7, s6, 31
	s_mov_b32 s11, s17
	s_add_u32 s6, s2, s6
	s_addc_u32 s7, s3, s7
	s_lshl_b64 s[2:3], s[10:11], 1
	v_and_b32_e32 v71, 7, v8
	s_add_u32 s18, s6, s2
	s_mul_i32 s2, s10, s38
	v_cvt_f32_f16_e32 v41, v1
	v_lshrrev_b32_e32 v1, 16, v6
	v_cvt_f32_f16_e32 v46, v6
	v_dual_cndmask_b32 v3, v15, v3 :: v_dual_add_nc_u32 v64, s26, v61
	v_add_nc_u32_e32 v6, v17, v72
	s_addc_u32 s19, s7, s3
	s_add_u32 s11, s4, s2
	s_mul_i32 s2, s10, s26
	v_cvt_f32_f16_e32 v38, v4
	v_lshrrev_b32_e32 v4, 16, v42
	s_addc_u32 s13, s5, 0
	s_add_u32 s20, s16, s2
	s_addc_u32 s21, s8, 0
	v_cmp_eq_u32_e64 s2, 0, v71
	v_cmp_eq_u32_e64 s3, 1, v71
	;; [unrolled: 1-line block ×8, first 2 shown]
	v_lshlrev_b32_e32 v71, 2, v3
	v_add_nc_u32_e32 v3, 4, v6
	v_cvt_f32_f16_e32 v43, v4
	v_or_b32_e32 v4, v17, v72
	v_cmp_gt_i32_e32 vcc_lo, 32, v5
	s_cmp_lg_u64 s[22:23], 0
	v_mul_lo_u32 v75, v3, s38
	v_add_nc_u32_e32 v3, 12, v6
	v_mul_lo_u32 v70, v4, s38
	v_cndmask_b32_e32 v5, v15, v5, vcc_lo
	v_lshlrev_b32_e32 v73, 1, v4
	v_or_b32_e32 v4, 16, v4
	s_cselect_b32 s27, -1, 0
	s_lshl_b32 s16, s36, 7
	v_add_nc_u32_e32 v67, s26, v64
	s_mul_i32 s22, s16, s26
	v_mul_lo_u32 v77, v3, s38
	s_ashr_i32 s26, s42, 31
	v_add_co_u32 v3, s36, v18, s42
	v_cvt_f32_f16_e32 v45, v0
	v_lshrrev_b32_e32 v0, 16, v49
	v_cvt_f32_f16_e32 v48, v1
	v_lshrrev_b32_e32 v1, 16, v52
	v_lshlrev_b32_e32 v72, 2, v5
	v_add_nc_u32_e32 v5, 20, v6
	v_mul_lo_u32 v78, v4, s38
	v_add_co_ci_u32_e64 v4, null, 0, s26, s36
	v_add_nc_u32_e32 v76, 8, v6
	v_add_nc_u32_e32 v80, 24, v6
	;; [unrolled: 1-line block ×3, first 2 shown]
	v_cvt_f32_f16_e32 v50, v0
	v_cvt_f32_f16_e32 v53, v1
	v_lshrrev_b32_e32 v1, 16, v54
	v_mul_lo_u32 v79, v5, s38
	v_lshlrev_b64 v[4:5], 1, v[3:4]
	v_dual_mov_b32 v3, 0 :: v_dual_add_nc_u32 v0, s42, v18
	v_mov_b32_e32 v95, 0xfeffffff
	v_dual_mov_b32 v94, 0xfeffffff :: v_dual_lshlrev_b32 v21, 2, v7
	v_lshlrev_b32_e32 v7, 3, v8
	v_mul_lo_u32 v76, v76, s38
	v_mul_lo_u32 v80, v80, s38
	;; [unrolled: 1-line block ×3, first 2 shown]
	v_cvt_f32_f16_e32 v56, v1
	v_ashrrev_i32_e32 v1, 31, v0
	v_and_b32_e32 v7, 56, v7
	v_lshrrev_b32_e32 v27, 16, v26
	v_lshrrev_b32_e32 v31, 16, v30
	;; [unrolled: 1-line block ×3, first 2 shown]
	v_lshlrev_b64 v[0:1], 1, v[0:1]
	v_mov_b32_e32 v2, 0
	v_ashrrev_i32_e32 v23, 31, v22
	v_cvt_f32_f16_e32 v25, v25
	v_cvt_f32_f16_e32 v26, v26
	v_cvt_f32_f16_e32 v27, v27
	v_cvt_f32_f16_e32 v28, v28
	v_cvt_f32_f16_e32 v30, v30
	v_cvt_f32_f16_e32 v31, v31
	v_cvt_f32_f16_e32 v34, v34
	v_cvt_f32_f16_e32 v35, v35
	v_cvt_f32_f16_e32 v36, v36
	v_cvt_f32_f16_e32 v42, v42
	v_cvt_f32_f16_e32 v49, v49
	v_cvt_f32_f16_e32 v52, v52
	v_cvt_f32_f16_e32 v54, v54
	v_cvt_f32_f16_e32 v57, v57
	v_ashrrev_i32_e32 v60, 31, v47
	v_ashrrev_i32_e32 v62, 31, v51
	;; [unrolled: 1-line block ×8, first 2 shown]
	v_lshl_add_u32 v82, v6, 1, 0x100
	v_ashrrev_i32_e32 v83, 31, v75
	v_ashrrev_i32_e32 v84, 31, v76
	;; [unrolled: 1-line block ×7, first 2 shown]
	v_lshlrev_b32_e32 v90, 2, v14
	v_lshlrev_b32_e32 v91, 1, v7
	s_mul_i32 s23, s16, s38
	s_and_b32 s26, s27, s46
	s_and_b32 s27, s27, s48
	s_mov_b32 s36, 0xbbbac73d
                                        ; implicit-def: $vgpr92
                                        ; implicit-def: $vgpr93
.LBB22_14:                              ; =>This Inner Loop Header: Depth=1
	v_add_co_u32 v100, s37, s20, v90
	s_delay_alu instid0(VALU_DEP_1) | instskip(NEXT) | instid1(VALU_DEP_2)
	v_add_co_ci_u32_e64 v101, null, s21, 0, s37
	v_add_co_u32 v6, vcc_lo, v100, v22
	s_delay_alu instid0(VALU_DEP_2)
	v_add_co_ci_u32_e32 v7, vcc_lo, v101, v23, vcc_lo
	s_clause 0x1
	global_load_b128 v[102:105], v[6:7], off
	global_load_b128 v[110:113], v[6:7], off offset:128
	s_waitcnt vmcnt(1)
	v_lshlrev_b32_e32 v96, 16, v102
	v_and_b32_e32 v98, 0xffff0000, v103
	v_and_b32_e32 v7, 0xffff0000, v102
	v_lshlrev_b32_e32 v102, 16, v104
	s_waitcnt vmcnt(0)
	v_lshlrev_b32_e32 v106, 16, v110
	v_fma_f32 v6, v96, v24, 0
	v_lshlrev_b32_e32 v97, 16, v103
	v_lshlrev_b32_e32 v108, 16, v111
	v_and_b32_e32 v103, 0xffff0000, v104
	v_lshlrev_b32_e32 v104, 16, v105
	v_fmac_f32_e32 v6, v7, v25
	v_and_b32_e32 v105, 0xffff0000, v105
	v_and_b32_e32 v107, 0xffff0000, v110
	v_lshlrev_b32_e32 v110, 16, v112
	s_delay_alu instid0(VALU_DEP_4) | instskip(SKIP_2) | instid1(VALU_DEP_3)
	v_dual_fmac_f32 v6, v97, v26 :: v_dual_and_b32 v109, 0xffff0000, v111
	v_and_b32_e32 v111, 0xffff0000, v112
	v_lshlrev_b32_e32 v112, 16, v113
	v_dual_fmac_f32 v6, v98, v27 :: v_dual_and_b32 v113, 0xffff0000, v113
	s_delay_alu instid0(VALU_DEP_1) | instskip(NEXT) | instid1(VALU_DEP_1)
	v_fmac_f32_e32 v6, v102, v28
	v_fmac_f32_e32 v6, v103, v29
	s_delay_alu instid0(VALU_DEP_1) | instskip(NEXT) | instid1(VALU_DEP_1)
	v_fmac_f32_e32 v6, v104, v30
	v_fmac_f32_e32 v6, v105, v31
	;; [unrolled: 3-line block ×6, first 2 shown]
	ds_bpermute_b32 v99, v19, v6
	s_waitcnt lgkmcnt(0)
	v_add_f32_e32 v6, v6, v99
	ds_bpermute_b32 v99, v20, v6
	s_waitcnt lgkmcnt(0)
	v_add_f32_e32 v6, v6, v99
	;; [unrolled: 3-line block ×3, first 2 shown]
                                        ; implicit-def: $vgpr99
	s_delay_alu instid0(VALU_DEP_1) | instskip(NEXT) | instid1(VALU_DEP_1)
	v_cmp_ngt_f32_e64 s37, 0x3f200000, |v6|
	s_and_saveexec_b32 s38, s37
	s_delay_alu instid0(SALU_CYCLE_1)
	s_xor_b32 s37, exec_lo, s38
	s_cbranch_execz .LBB22_16
; %bb.15:                               ;   in Loop: Header=BB22_14 Depth=1
	v_add_f32_e64 v99, |v6|, |v6|
	s_delay_alu instid0(VALU_DEP_1) | instskip(SKIP_1) | instid1(VALU_DEP_2)
	v_mul_f32_e32 v114, 0x3fb8aa3b, v99
	v_cmp_ngt_f32_e32 vcc_lo, 0xc2ce8ed0, v99
	v_rndne_f32_e32 v115, v114
	v_fma_f32 v116, 0x3fb8aa3b, v99, -v114
	s_delay_alu instid0(VALU_DEP_2) | instskip(NEXT) | instid1(VALU_DEP_2)
	v_sub_f32_e32 v114, v114, v115
	v_fmac_f32_e32 v116, 0x32a5705f, v99
	v_cvt_i32_f32_e32 v115, v115
	s_delay_alu instid0(VALU_DEP_2) | instskip(NEXT) | instid1(VALU_DEP_1)
	v_add_f32_e32 v114, v114, v116
	v_exp_f32_e32 v114, v114
	s_waitcnt_depctr 0xfff
	v_ldexp_f32 v114, v114, v115
	s_delay_alu instid0(VALU_DEP_1) | instskip(SKIP_1) | instid1(VALU_DEP_2)
	v_cndmask_b32_e32 v114, 0, v114, vcc_lo
	v_cmp_nlt_f32_e32 vcc_lo, 0x42b17218, v99
	v_cndmask_b32_e32 v99, 0x7f800000, v114, vcc_lo
	s_delay_alu instid0(VALU_DEP_1) | instskip(NEXT) | instid1(VALU_DEP_1)
	v_add_f32_e32 v99, 1.0, v99
	v_rcp_f32_e32 v99, v99
	s_waitcnt_depctr 0xfff
	v_fma_f32 v99, v99, -2.0, 1.0
.LBB22_16:                              ;   in Loop: Header=BB22_14 Depth=1
	s_and_not1_saveexec_b32 s37, s37
; %bb.17:                               ;   in Loop: Header=BB22_14 Depth=1
	v_mul_f32_e32 v99, v6, v6
	s_delay_alu instid0(VALU_DEP_1) | instskip(NEXT) | instid1(VALU_DEP_1)
	v_fmaak_f32 v114, s36, v99, 0x3ca908c9
	v_fmaak_f32 v114, v99, v114, 0xbd5c1c4e
	s_delay_alu instid0(VALU_DEP_1) | instskip(NEXT) | instid1(VALU_DEP_1)
	v_fmaak_f32 v114, v99, v114, 0x3e088382
	v_fmaak_f32 v114, v99, v114, 0xbeaaaa99
	s_delay_alu instid0(VALU_DEP_1) | instskip(NEXT) | instid1(VALU_DEP_1)
	v_mul_f32_e64 v114, |v6|, v114
	v_fma_f32 v99, v99, v114, |v6|
; %bb.18:                               ;   in Loop: Header=BB22_14 Depth=1
	s_or_b32 exec_lo, exec_lo, s37
	s_delay_alu instid0(VALU_DEP_1) | instskip(SKIP_2) | instid1(VALU_DEP_2)
	v_bfi_b32 v6, 0x7fffffff, v99, v6
	v_lshlrev_b32_e32 v99, 1, v18
	s_and_not1_b32 vcc_lo, exec_lo, s26
	v_mul_f32_e32 v6, s41, v6
	s_cbranch_vccnz .LBB22_20
; %bb.19:                               ;   in Loop: Header=BB22_14 Depth=1
	global_load_u16 v114, v99, s[18:19]
	s_waitcnt vmcnt(0)
	v_fma_mix_f32 v6, v16, v114, v6 op_sel_hi:[0,1,0]
.LBB22_20:                              ;   in Loop: Header=BB22_14 Depth=1
	v_fma_f32 v96, v96, v40, 0
	s_delay_alu instid0(VALU_DEP_1) | instskip(NEXT) | instid1(VALU_DEP_1)
	v_fmac_f32_e32 v96, v7, v41
	v_fmac_f32_e32 v96, v97, v42
	s_delay_alu instid0(VALU_DEP_1) | instskip(NEXT) | instid1(VALU_DEP_1)
	v_fmac_f32_e32 v96, v98, v43
	v_fmac_f32_e32 v96, v102, v44
	;; [unrolled: 3-line block ×7, first 2 shown]
	s_delay_alu instid0(VALU_DEP_1)
	v_fmac_f32_e32 v96, v113, v59
	ds_bpermute_b32 v7, v19, v96
	s_waitcnt lgkmcnt(0)
	v_add_f32_e32 v7, v96, v7
	ds_bpermute_b32 v96, v20, v7
	s_waitcnt lgkmcnt(0)
	v_add_f32_e32 v7, v7, v96
	;; [unrolled: 3-line block ×3, first 2 shown]
                                        ; implicit-def: $vgpr96
	s_delay_alu instid0(VALU_DEP_1) | instskip(NEXT) | instid1(VALU_DEP_1)
	v_cmp_ngt_f32_e64 s37, 0x3f200000, |v7|
	s_and_saveexec_b32 s38, s37
	s_delay_alu instid0(SALU_CYCLE_1)
	s_xor_b32 s37, exec_lo, s38
	s_cbranch_execz .LBB22_22
; %bb.21:                               ;   in Loop: Header=BB22_14 Depth=1
	v_add_f32_e64 v96, |v7|, |v7|
	s_delay_alu instid0(VALU_DEP_1) | instskip(SKIP_1) | instid1(VALU_DEP_2)
	v_mul_f32_e32 v97, 0x3fb8aa3b, v96
	v_cmp_ngt_f32_e32 vcc_lo, 0xc2ce8ed0, v96
	v_rndne_f32_e32 v98, v97
	v_fma_f32 v102, 0x3fb8aa3b, v96, -v97
	s_delay_alu instid0(VALU_DEP_1) | instskip(SKIP_1) | instid1(VALU_DEP_2)
	v_dual_sub_f32 v97, v97, v98 :: v_dual_fmac_f32 v102, 0x32a5705f, v96
	v_cvt_i32_f32_e32 v98, v98
	v_add_f32_e32 v97, v97, v102
	s_delay_alu instid0(VALU_DEP_1) | instskip(SKIP_2) | instid1(VALU_DEP_1)
	v_exp_f32_e32 v97, v97
	s_waitcnt_depctr 0xfff
	v_ldexp_f32 v97, v97, v98
	v_cndmask_b32_e32 v97, 0, v97, vcc_lo
	v_cmp_nlt_f32_e32 vcc_lo, 0x42b17218, v96
	s_delay_alu instid0(VALU_DEP_2) | instskip(NEXT) | instid1(VALU_DEP_1)
	v_cndmask_b32_e32 v96, 0x7f800000, v97, vcc_lo
	v_add_f32_e32 v96, 1.0, v96
	s_delay_alu instid0(VALU_DEP_1)
	v_rcp_f32_e32 v96, v96
	s_waitcnt_depctr 0xfff
	v_fma_f32 v96, v96, -2.0, 1.0
.LBB22_22:                              ;   in Loop: Header=BB22_14 Depth=1
	s_and_not1_saveexec_b32 s37, s37
; %bb.23:                               ;   in Loop: Header=BB22_14 Depth=1
	v_mul_f32_e32 v96, v7, v7
	s_delay_alu instid0(VALU_DEP_1) | instskip(NEXT) | instid1(VALU_DEP_1)
	v_fmaak_f32 v97, s36, v96, 0x3ca908c9
	v_fmaak_f32 v97, v96, v97, 0xbd5c1c4e
	s_delay_alu instid0(VALU_DEP_1) | instskip(NEXT) | instid1(VALU_DEP_1)
	v_fmaak_f32 v97, v96, v97, 0x3e088382
	v_fmaak_f32 v97, v96, v97, 0xbeaaaa99
	s_delay_alu instid0(VALU_DEP_1) | instskip(NEXT) | instid1(VALU_DEP_1)
	v_mul_f32_e64 v97, |v7|, v97
	v_fma_f32 v96, v96, v97, |v7|
; %bb.24:                               ;   in Loop: Header=BB22_14 Depth=1
	s_or_b32 exec_lo, exec_lo, s37
	s_delay_alu instid0(VALU_DEP_1) | instskip(SKIP_1) | instid1(VALU_DEP_1)
	v_bfi_b32 v7, 0x7fffffff, v96, v7
	s_and_not1_b32 vcc_lo, exec_lo, s27
	v_mul_f32_e32 v7, s41, v7
	s_cbranch_vccnz .LBB22_26
; %bb.25:                               ;   in Loop: Header=BB22_14 Depth=1
	v_add_co_u32 v96, vcc_lo, s18, v0
	v_add_co_ci_u32_e32 v97, vcc_lo, s19, v1, vcc_lo
	global_load_u16 v96, v[96:97], off
	s_waitcnt vmcnt(0)
	v_fma_mix_f32 v7, v16, v96, v7 op_sel_hi:[0,1,0]
.LBB22_26:                              ;   in Loop: Header=BB22_14 Depth=1
	v_add_co_u32 v96, vcc_lo, v100, v47
	v_add_co_ci_u32_e32 v97, vcc_lo, v101, v60, vcc_lo
	s_clause 0x1
	global_load_b128 v[104:107], v[96:97], off
	global_load_b128 v[112:115], v[96:97], off offset:128
	s_waitcnt vmcnt(1)
	v_lshlrev_b32_e32 v98, 16, v104
	v_lshlrev_b32_e32 v102, 16, v105
	v_and_b32_e32 v97, 0xffff0000, v104
	v_lshlrev_b32_e32 v104, 16, v106
	v_and_b32_e32 v103, 0xffff0000, v105
	v_fma_f32 v96, v98, v24, 0
	s_waitcnt vmcnt(0)
	v_lshlrev_b32_e32 v108, 16, v112
	v_lshlrev_b32_e32 v110, 16, v113
	v_and_b32_e32 v105, 0xffff0000, v106
	v_lshlrev_b32_e32 v106, 16, v107
	v_dual_fmac_f32 v96, v97, v25 :: v_dual_and_b32 v109, 0xffff0000, v112
	v_lshlrev_b32_e32 v112, 16, v114
	v_and_b32_e32 v107, 0xffff0000, v107
	s_delay_alu instid0(VALU_DEP_3) | instskip(SKIP_3) | instid1(VALU_DEP_4)
	v_dual_fmac_f32 v96, v102, v26 :: v_dual_and_b32 v111, 0xffff0000, v113
	v_and_b32_e32 v113, 0xffff0000, v114
	v_lshlrev_b32_e32 v114, 16, v115
	v_and_b32_e32 v115, 0xffff0000, v115
	v_fmac_f32_e32 v96, v103, v27
	s_delay_alu instid0(VALU_DEP_1) | instskip(NEXT) | instid1(VALU_DEP_1)
	v_fmac_f32_e32 v96, v104, v28
	v_fmac_f32_e32 v96, v105, v29
	s_delay_alu instid0(VALU_DEP_1) | instskip(NEXT) | instid1(VALU_DEP_1)
	v_fmac_f32_e32 v96, v106, v30
	v_fmac_f32_e32 v96, v107, v31
	s_delay_alu instid0(VALU_DEP_1) | instskip(NEXT) | instid1(VALU_DEP_1)
	v_fmac_f32_e32 v96, v32, v108
	v_fmac_f32_e32 v96, v33, v109
	s_delay_alu instid0(VALU_DEP_1) | instskip(NEXT) | instid1(VALU_DEP_1)
	v_fmac_f32_e32 v96, v34, v110
	v_fmac_f32_e32 v96, v35, v111
	s_delay_alu instid0(VALU_DEP_1) | instskip(NEXT) | instid1(VALU_DEP_1)
	v_fmac_f32_e32 v96, v36, v112
	v_fmac_f32_e32 v96, v37, v113
	s_delay_alu instid0(VALU_DEP_1) | instskip(NEXT) | instid1(VALU_DEP_1)
	v_fmac_f32_e32 v96, v38, v114
	v_fmac_f32_e32 v96, v39, v115
	ds_bpermute_b32 v116, v19, v96
	s_waitcnt lgkmcnt(0)
	v_add_f32_e32 v96, v96, v116
	ds_bpermute_b32 v116, v20, v96
	s_waitcnt lgkmcnt(0)
	v_add_f32_e32 v96, v96, v116
	;; [unrolled: 3-line block ×3, first 2 shown]
                                        ; implicit-def: $vgpr116
	s_delay_alu instid0(VALU_DEP_1) | instskip(NEXT) | instid1(VALU_DEP_1)
	v_cmp_ngt_f32_e64 s37, 0x3f200000, |v96|
	s_and_saveexec_b32 s38, s37
	s_delay_alu instid0(SALU_CYCLE_1)
	s_xor_b32 s37, exec_lo, s38
	s_cbranch_execz .LBB22_28
; %bb.27:                               ;   in Loop: Header=BB22_14 Depth=1
	v_add_f32_e64 v116, |v96|, |v96|
	s_delay_alu instid0(VALU_DEP_1) | instskip(SKIP_1) | instid1(VALU_DEP_2)
	v_mul_f32_e32 v117, 0x3fb8aa3b, v116
	v_cmp_ngt_f32_e32 vcc_lo, 0xc2ce8ed0, v116
	v_rndne_f32_e32 v118, v117
	v_fma_f32 v119, 0x3fb8aa3b, v116, -v117
	s_delay_alu instid0(VALU_DEP_2) | instskip(NEXT) | instid1(VALU_DEP_2)
	v_sub_f32_e32 v117, v117, v118
	v_fmac_f32_e32 v119, 0x32a5705f, v116
	v_cvt_i32_f32_e32 v118, v118
	s_delay_alu instid0(VALU_DEP_2) | instskip(NEXT) | instid1(VALU_DEP_1)
	v_add_f32_e32 v117, v117, v119
	v_exp_f32_e32 v117, v117
	s_waitcnt_depctr 0xfff
	v_ldexp_f32 v117, v117, v118
	s_delay_alu instid0(VALU_DEP_1) | instskip(SKIP_1) | instid1(VALU_DEP_2)
	v_cndmask_b32_e32 v117, 0, v117, vcc_lo
	v_cmp_nlt_f32_e32 vcc_lo, 0x42b17218, v116
	v_cndmask_b32_e32 v116, 0x7f800000, v117, vcc_lo
	s_delay_alu instid0(VALU_DEP_1) | instskip(NEXT) | instid1(VALU_DEP_1)
	v_add_f32_e32 v116, 1.0, v116
	v_rcp_f32_e32 v116, v116
	s_waitcnt_depctr 0xfff
	v_fma_f32 v116, v116, -2.0, 1.0
.LBB22_28:                              ;   in Loop: Header=BB22_14 Depth=1
	s_and_not1_saveexec_b32 s37, s37
; %bb.29:                               ;   in Loop: Header=BB22_14 Depth=1
	v_mul_f32_e32 v116, v96, v96
	s_delay_alu instid0(VALU_DEP_1) | instskip(NEXT) | instid1(VALU_DEP_1)
	v_fmaak_f32 v117, s36, v116, 0x3ca908c9
	v_fmaak_f32 v117, v116, v117, 0xbd5c1c4e
	s_delay_alu instid0(VALU_DEP_1) | instskip(NEXT) | instid1(VALU_DEP_1)
	v_fmaak_f32 v117, v116, v117, 0x3e088382
	v_fmaak_f32 v117, v116, v117, 0xbeaaaa99
	s_delay_alu instid0(VALU_DEP_1) | instskip(NEXT) | instid1(VALU_DEP_1)
	v_mul_f32_e64 v117, |v96|, v117
	v_fma_f32 v116, v116, v117, |v96|
; %bb.30:                               ;   in Loop: Header=BB22_14 Depth=1
	s_or_b32 exec_lo, exec_lo, s37
	s_delay_alu instid0(VALU_DEP_1) | instskip(SKIP_1) | instid1(VALU_DEP_1)
	v_bfi_b32 v96, 0x7fffffff, v116, v96
	s_and_not1_b32 vcc_lo, exec_lo, s26
	v_mul_f32_e32 v96, s41, v96
	s_cbranch_vccnz .LBB22_32
; %bb.31:                               ;   in Loop: Header=BB22_14 Depth=1
	global_load_u16 v116, v99, s[18:19] offset:2
	s_waitcnt vmcnt(0)
	v_fma_mix_f32 v96, v16, v116, v96 op_sel_hi:[0,1,0]
.LBB22_32:                              ;   in Loop: Header=BB22_14 Depth=1
	v_fma_f32 v98, v98, v40, 0
	s_delay_alu instid0(VALU_DEP_1) | instskip(NEXT) | instid1(VALU_DEP_1)
	v_fmac_f32_e32 v98, v97, v41
	v_fmac_f32_e32 v98, v102, v42
	s_delay_alu instid0(VALU_DEP_1) | instskip(NEXT) | instid1(VALU_DEP_1)
	v_fmac_f32_e32 v98, v103, v43
	v_fmac_f32_e32 v98, v104, v44
	s_delay_alu instid0(VALU_DEP_1) | instskip(NEXT) | instid1(VALU_DEP_1)
	v_fmac_f32_e32 v98, v105, v45
	v_fmac_f32_e32 v98, v106, v46
	s_delay_alu instid0(VALU_DEP_1) | instskip(NEXT) | instid1(VALU_DEP_1)
	v_fmac_f32_e32 v98, v107, v48
	v_fmac_f32_e32 v98, v108, v49
	s_delay_alu instid0(VALU_DEP_1) | instskip(NEXT) | instid1(VALU_DEP_1)
	v_fmac_f32_e32 v98, v109, v50
	v_fmac_f32_e32 v98, v110, v52
	s_delay_alu instid0(VALU_DEP_1) | instskip(NEXT) | instid1(VALU_DEP_1)
	v_fmac_f32_e32 v98, v111, v53
	v_fmac_f32_e32 v98, v112, v54
	s_delay_alu instid0(VALU_DEP_1) | instskip(NEXT) | instid1(VALU_DEP_1)
	v_fmac_f32_e32 v98, v113, v56
	v_fmac_f32_e32 v98, v114, v57
	s_delay_alu instid0(VALU_DEP_1)
	v_fmac_f32_e32 v98, v115, v59
	ds_bpermute_b32 v97, v19, v98
	s_waitcnt lgkmcnt(0)
	v_add_f32_e32 v97, v98, v97
	ds_bpermute_b32 v98, v20, v97
	s_waitcnt lgkmcnt(0)
	v_add_f32_e32 v97, v97, v98
	ds_bpermute_b32 v98, v21, v97
	s_waitcnt lgkmcnt(0)
	v_add_f32_e32 v97, v97, v98
                                        ; implicit-def: $vgpr98
	s_delay_alu instid0(VALU_DEP_1) | instskip(NEXT) | instid1(VALU_DEP_1)
	v_cmp_ngt_f32_e64 s37, 0x3f200000, |v97|
	s_and_saveexec_b32 s38, s37
	s_delay_alu instid0(SALU_CYCLE_1)
	s_xor_b32 s37, exec_lo, s38
	s_cbranch_execz .LBB22_34
; %bb.33:                               ;   in Loop: Header=BB22_14 Depth=1
	v_add_f32_e64 v98, |v97|, |v97|
	s_delay_alu instid0(VALU_DEP_1) | instskip(SKIP_1) | instid1(VALU_DEP_2)
	v_mul_f32_e32 v102, 0x3fb8aa3b, v98
	v_cmp_ngt_f32_e32 vcc_lo, 0xc2ce8ed0, v98
	v_rndne_f32_e32 v103, v102
	v_fma_f32 v104, 0x3fb8aa3b, v98, -v102
	s_delay_alu instid0(VALU_DEP_2) | instskip(NEXT) | instid1(VALU_DEP_2)
	v_sub_f32_e32 v102, v102, v103
	v_fmac_f32_e32 v104, 0x32a5705f, v98
	v_cvt_i32_f32_e32 v103, v103
	s_delay_alu instid0(VALU_DEP_2) | instskip(NEXT) | instid1(VALU_DEP_1)
	v_add_f32_e32 v102, v102, v104
	v_exp_f32_e32 v102, v102
	s_waitcnt_depctr 0xfff
	v_ldexp_f32 v102, v102, v103
	s_delay_alu instid0(VALU_DEP_1) | instskip(SKIP_1) | instid1(VALU_DEP_2)
	v_cndmask_b32_e32 v102, 0, v102, vcc_lo
	v_cmp_nlt_f32_e32 vcc_lo, 0x42b17218, v98
	v_cndmask_b32_e32 v98, 0x7f800000, v102, vcc_lo
	s_delay_alu instid0(VALU_DEP_1) | instskip(NEXT) | instid1(VALU_DEP_1)
	v_add_f32_e32 v98, 1.0, v98
	v_rcp_f32_e32 v98, v98
	s_waitcnt_depctr 0xfff
	v_fma_f32 v98, v98, -2.0, 1.0
.LBB22_34:                              ;   in Loop: Header=BB22_14 Depth=1
	s_and_not1_saveexec_b32 s37, s37
; %bb.35:                               ;   in Loop: Header=BB22_14 Depth=1
	v_mul_f32_e32 v98, v97, v97
	s_delay_alu instid0(VALU_DEP_1) | instskip(NEXT) | instid1(VALU_DEP_1)
	v_fmaak_f32 v102, s36, v98, 0x3ca908c9
	v_fmaak_f32 v102, v98, v102, 0xbd5c1c4e
	s_delay_alu instid0(VALU_DEP_1) | instskip(NEXT) | instid1(VALU_DEP_1)
	v_fmaak_f32 v102, v98, v102, 0x3e088382
	v_fmaak_f32 v102, v98, v102, 0xbeaaaa99
	s_delay_alu instid0(VALU_DEP_1) | instskip(NEXT) | instid1(VALU_DEP_1)
	v_mul_f32_e64 v102, |v97|, v102
	v_fma_f32 v98, v98, v102, |v97|
; %bb.36:                               ;   in Loop: Header=BB22_14 Depth=1
	s_or_b32 exec_lo, exec_lo, s37
	s_delay_alu instid0(VALU_DEP_1) | instskip(SKIP_1) | instid1(VALU_DEP_1)
	v_bfi_b32 v97, 0x7fffffff, v98, v97
	s_and_not1_b32 vcc_lo, exec_lo, s27
	v_mul_f32_e32 v97, s41, v97
	s_cbranch_vccnz .LBB22_38
; %bb.37:                               ;   in Loop: Header=BB22_14 Depth=1
	v_add_co_u32 v102, vcc_lo, s18, v4
	v_add_co_ci_u32_e32 v103, vcc_lo, s19, v5, vcc_lo
	global_load_u16 v98, v[102:103], off offset:2
	s_waitcnt vmcnt(0)
	v_fma_mix_f32 v97, v16, v98, v97 op_sel_hi:[0,1,0]
.LBB22_38:                              ;   in Loop: Header=BB22_14 Depth=1
	v_add_co_u32 v102, vcc_lo, v100, v51
	v_add_co_ci_u32_e32 v103, vcc_lo, v101, v62, vcc_lo
	s_clause 0x1
	global_load_b128 v[106:109], v[102:103], off
	global_load_b128 v[114:117], v[102:103], off offset:128
	s_waitcnt vmcnt(1)
	v_and_b32_e32 v102, 0xffff0000, v106
	v_lshlrev_b32_e32 v103, 16, v106
	v_lshlrev_b32_e32 v104, 16, v107
	v_lshlrev_b32_e32 v106, 16, v108
	s_waitcnt vmcnt(0)
	v_lshlrev_b32_e32 v110, 16, v114
	v_lshlrev_b32_e32 v112, 16, v115
	v_fma_f32 v98, v103, v24, 0
	v_and_b32_e32 v111, 0xffff0000, v114
	v_lshlrev_b32_e32 v114, 16, v116
	v_and_b32_e32 v113, 0xffff0000, v115
	s_delay_alu instid0(VALU_DEP_4) | instskip(SKIP_3) | instid1(VALU_DEP_4)
	v_dual_fmac_f32 v98, v102, v25 :: v_dual_and_b32 v115, 0xffff0000, v116
	v_and_b32_e32 v105, 0xffff0000, v107
	v_and_b32_e32 v107, 0xffff0000, v108
	v_lshlrev_b32_e32 v108, 16, v109
	v_dual_fmac_f32 v98, v104, v26 :: v_dual_and_b32 v109, 0xffff0000, v109
	v_lshlrev_b32_e32 v116, 16, v117
	s_delay_alu instid0(VALU_DEP_2) | instskip(NEXT) | instid1(VALU_DEP_1)
	v_dual_fmac_f32 v98, v105, v27 :: v_dual_and_b32 v117, 0xffff0000, v117
	v_fmac_f32_e32 v98, v106, v28
	s_delay_alu instid0(VALU_DEP_1) | instskip(NEXT) | instid1(VALU_DEP_1)
	v_fmac_f32_e32 v98, v107, v29
	v_fmac_f32_e32 v98, v108, v30
	s_delay_alu instid0(VALU_DEP_1) | instskip(NEXT) | instid1(VALU_DEP_1)
	v_fmac_f32_e32 v98, v109, v31
	;; [unrolled: 3-line block ×5, first 2 shown]
	v_fmac_f32_e32 v98, v38, v116
	s_delay_alu instid0(VALU_DEP_1)
	v_fmac_f32_e32 v98, v39, v117
	ds_bpermute_b32 v118, v19, v98
	s_waitcnt lgkmcnt(0)
	v_add_f32_e32 v98, v98, v118
	ds_bpermute_b32 v118, v20, v98
	s_waitcnt lgkmcnt(0)
	v_add_f32_e32 v98, v98, v118
	ds_bpermute_b32 v118, v21, v98
	s_waitcnt lgkmcnt(0)
	v_add_f32_e32 v98, v98, v118
                                        ; implicit-def: $vgpr118
	s_delay_alu instid0(VALU_DEP_1) | instskip(NEXT) | instid1(VALU_DEP_1)
	v_cmp_ngt_f32_e64 s37, 0x3f200000, |v98|
	s_and_saveexec_b32 s38, s37
	s_delay_alu instid0(SALU_CYCLE_1)
	s_xor_b32 s37, exec_lo, s38
	s_cbranch_execz .LBB22_40
; %bb.39:                               ;   in Loop: Header=BB22_14 Depth=1
	v_add_f32_e64 v118, |v98|, |v98|
	s_delay_alu instid0(VALU_DEP_1) | instskip(SKIP_1) | instid1(VALU_DEP_2)
	v_mul_f32_e32 v119, 0x3fb8aa3b, v118
	v_cmp_ngt_f32_e32 vcc_lo, 0xc2ce8ed0, v118
	v_rndne_f32_e32 v120, v119
	v_fma_f32 v121, 0x3fb8aa3b, v118, -v119
	s_delay_alu instid0(VALU_DEP_2) | instskip(NEXT) | instid1(VALU_DEP_2)
	v_sub_f32_e32 v119, v119, v120
	v_fmac_f32_e32 v121, 0x32a5705f, v118
	v_cvt_i32_f32_e32 v120, v120
	s_delay_alu instid0(VALU_DEP_2) | instskip(NEXT) | instid1(VALU_DEP_1)
	v_add_f32_e32 v119, v119, v121
	v_exp_f32_e32 v119, v119
	s_waitcnt_depctr 0xfff
	v_ldexp_f32 v119, v119, v120
	s_delay_alu instid0(VALU_DEP_1) | instskip(SKIP_1) | instid1(VALU_DEP_2)
	v_cndmask_b32_e32 v119, 0, v119, vcc_lo
	v_cmp_nlt_f32_e32 vcc_lo, 0x42b17218, v118
	v_cndmask_b32_e32 v118, 0x7f800000, v119, vcc_lo
	s_delay_alu instid0(VALU_DEP_1) | instskip(NEXT) | instid1(VALU_DEP_1)
	v_add_f32_e32 v118, 1.0, v118
	v_rcp_f32_e32 v118, v118
	s_waitcnt_depctr 0xfff
	v_fma_f32 v118, v118, -2.0, 1.0
.LBB22_40:                              ;   in Loop: Header=BB22_14 Depth=1
	s_and_not1_saveexec_b32 s37, s37
; %bb.41:                               ;   in Loop: Header=BB22_14 Depth=1
	v_mul_f32_e32 v118, v98, v98
	s_delay_alu instid0(VALU_DEP_1) | instskip(NEXT) | instid1(VALU_DEP_1)
	v_fmaak_f32 v119, s36, v118, 0x3ca908c9
	v_fmaak_f32 v119, v118, v119, 0xbd5c1c4e
	s_delay_alu instid0(VALU_DEP_1) | instskip(NEXT) | instid1(VALU_DEP_1)
	v_fmaak_f32 v119, v118, v119, 0x3e088382
	v_fmaak_f32 v119, v118, v119, 0xbeaaaa99
	s_delay_alu instid0(VALU_DEP_1) | instskip(NEXT) | instid1(VALU_DEP_1)
	v_mul_f32_e64 v119, |v98|, v119
	v_fma_f32 v118, v118, v119, |v98|
; %bb.42:                               ;   in Loop: Header=BB22_14 Depth=1
	s_or_b32 exec_lo, exec_lo, s37
	s_delay_alu instid0(VALU_DEP_1) | instskip(SKIP_1) | instid1(VALU_DEP_1)
	v_bfi_b32 v98, 0x7fffffff, v118, v98
	s_and_not1_b32 vcc_lo, exec_lo, s26
	v_mul_f32_e32 v98, s41, v98
	s_cbranch_vccnz .LBB22_44
; %bb.43:                               ;   in Loop: Header=BB22_14 Depth=1
	global_load_u16 v118, v99, s[18:19] offset:4
	s_waitcnt vmcnt(0)
	v_fma_mix_f32 v98, v16, v118, v98 op_sel_hi:[0,1,0]
.LBB22_44:                              ;   in Loop: Header=BB22_14 Depth=1
	v_fma_f32 v103, v103, v40, 0
	s_delay_alu instid0(VALU_DEP_1) | instskip(NEXT) | instid1(VALU_DEP_1)
	v_fmac_f32_e32 v103, v102, v41
	v_fmac_f32_e32 v103, v104, v42
	s_delay_alu instid0(VALU_DEP_1) | instskip(NEXT) | instid1(VALU_DEP_1)
	v_fmac_f32_e32 v103, v105, v43
	v_fmac_f32_e32 v103, v106, v44
	;; [unrolled: 3-line block ×7, first 2 shown]
	s_delay_alu instid0(VALU_DEP_1)
	v_fmac_f32_e32 v103, v117, v59
	ds_bpermute_b32 v102, v19, v103
	s_waitcnt lgkmcnt(0)
	v_add_f32_e32 v102, v103, v102
	ds_bpermute_b32 v103, v20, v102
	s_waitcnt lgkmcnt(0)
	v_add_f32_e32 v102, v102, v103
	;; [unrolled: 3-line block ×3, first 2 shown]
                                        ; implicit-def: $vgpr103
	s_delay_alu instid0(VALU_DEP_1) | instskip(NEXT) | instid1(VALU_DEP_1)
	v_cmp_ngt_f32_e64 s37, 0x3f200000, |v102|
	s_and_saveexec_b32 s38, s37
	s_delay_alu instid0(SALU_CYCLE_1)
	s_xor_b32 s37, exec_lo, s38
	s_cbranch_execz .LBB22_46
; %bb.45:                               ;   in Loop: Header=BB22_14 Depth=1
	v_add_f32_e64 v103, |v102|, |v102|
	s_delay_alu instid0(VALU_DEP_1) | instskip(SKIP_1) | instid1(VALU_DEP_2)
	v_mul_f32_e32 v104, 0x3fb8aa3b, v103
	v_cmp_ngt_f32_e32 vcc_lo, 0xc2ce8ed0, v103
	v_rndne_f32_e32 v105, v104
	v_fma_f32 v106, 0x3fb8aa3b, v103, -v104
	s_delay_alu instid0(VALU_DEP_2) | instskip(NEXT) | instid1(VALU_DEP_2)
	v_sub_f32_e32 v104, v104, v105
	v_fmac_f32_e32 v106, 0x32a5705f, v103
	v_cvt_i32_f32_e32 v105, v105
	s_delay_alu instid0(VALU_DEP_2) | instskip(NEXT) | instid1(VALU_DEP_1)
	v_add_f32_e32 v104, v104, v106
	v_exp_f32_e32 v104, v104
	s_waitcnt_depctr 0xfff
	v_ldexp_f32 v104, v104, v105
	s_delay_alu instid0(VALU_DEP_1) | instskip(SKIP_1) | instid1(VALU_DEP_2)
	v_cndmask_b32_e32 v104, 0, v104, vcc_lo
	v_cmp_nlt_f32_e32 vcc_lo, 0x42b17218, v103
	v_cndmask_b32_e32 v103, 0x7f800000, v104, vcc_lo
	s_delay_alu instid0(VALU_DEP_1) | instskip(NEXT) | instid1(VALU_DEP_1)
	v_add_f32_e32 v103, 1.0, v103
	v_rcp_f32_e32 v103, v103
	s_waitcnt_depctr 0xfff
	v_fma_f32 v103, v103, -2.0, 1.0
.LBB22_46:                              ;   in Loop: Header=BB22_14 Depth=1
	s_and_not1_saveexec_b32 s37, s37
; %bb.47:                               ;   in Loop: Header=BB22_14 Depth=1
	v_mul_f32_e32 v103, v102, v102
	s_delay_alu instid0(VALU_DEP_1) | instskip(NEXT) | instid1(VALU_DEP_1)
	v_fmaak_f32 v104, s36, v103, 0x3ca908c9
	v_fmaak_f32 v104, v103, v104, 0xbd5c1c4e
	s_delay_alu instid0(VALU_DEP_1) | instskip(NEXT) | instid1(VALU_DEP_1)
	v_fmaak_f32 v104, v103, v104, 0x3e088382
	v_fmaak_f32 v104, v103, v104, 0xbeaaaa99
	s_delay_alu instid0(VALU_DEP_1) | instskip(NEXT) | instid1(VALU_DEP_1)
	v_mul_f32_e64 v104, |v102|, v104
	v_fma_f32 v103, v103, v104, |v102|
; %bb.48:                               ;   in Loop: Header=BB22_14 Depth=1
	s_or_b32 exec_lo, exec_lo, s37
	s_delay_alu instid0(VALU_DEP_1) | instskip(SKIP_1) | instid1(VALU_DEP_1)
	v_bfi_b32 v102, 0x7fffffff, v103, v102
	s_and_not1_b32 vcc_lo, exec_lo, s27
	v_mul_f32_e32 v102, s41, v102
	s_cbranch_vccnz .LBB22_50
; %bb.49:                               ;   in Loop: Header=BB22_14 Depth=1
	v_add_co_u32 v103, vcc_lo, s18, v4
	v_add_co_ci_u32_e32 v104, vcc_lo, s19, v5, vcc_lo
	global_load_u16 v103, v[103:104], off offset:4
	s_waitcnt vmcnt(0)
	v_fma_mix_f32 v102, v16, v103, v102 op_sel_hi:[0,1,0]
.LBB22_50:                              ;   in Loop: Header=BB22_14 Depth=1
	v_add_co_u32 v103, vcc_lo, v100, v55
	v_add_co_ci_u32_e32 v104, vcc_lo, v101, v63, vcc_lo
	s_clause 0x1
	global_load_b128 v[108:111], v[103:104], off
	global_load_b128 v[116:119], v[103:104], off offset:128
	s_waitcnt vmcnt(1)
	v_lshlrev_b32_e32 v105, 16, v108
	v_and_b32_e32 v107, 0xffff0000, v109
	v_lshlrev_b32_e32 v106, 16, v109
	v_and_b32_e32 v104, 0xffff0000, v108
	v_and_b32_e32 v109, 0xffff0000, v110
	v_fma_f32 v103, v105, v24, 0
	s_waitcnt vmcnt(0)
	v_and_b32_e32 v113, 0xffff0000, v116
	v_and_b32_e32 v115, 0xffff0000, v117
	v_lshlrev_b32_e32 v108, 16, v110
	v_dual_fmac_f32 v103, v104, v25 :: v_dual_lshlrev_b32 v110, 16, v111
	v_and_b32_e32 v111, 0xffff0000, v111
	v_lshlrev_b32_e32 v112, 16, v116
	v_lshlrev_b32_e32 v114, 16, v117
	v_and_b32_e32 v117, 0xffff0000, v118
	v_fmac_f32_e32 v103, v106, v26
	v_lshlrev_b32_e32 v116, 16, v118
	v_lshlrev_b32_e32 v118, 16, v119
	v_and_b32_e32 v119, 0xffff0000, v119
	s_delay_alu instid0(VALU_DEP_4) | instskip(NEXT) | instid1(VALU_DEP_1)
	v_fmac_f32_e32 v103, v107, v27
	v_fmac_f32_e32 v103, v108, v28
	s_delay_alu instid0(VALU_DEP_1) | instskip(NEXT) | instid1(VALU_DEP_1)
	v_fmac_f32_e32 v103, v109, v29
	v_fmac_f32_e32 v103, v110, v30
	s_delay_alu instid0(VALU_DEP_1) | instskip(NEXT) | instid1(VALU_DEP_1)
	;; [unrolled: 3-line block ×5, first 2 shown]
	v_fmac_f32_e32 v103, v37, v117
	v_fmac_f32_e32 v103, v38, v118
	s_delay_alu instid0(VALU_DEP_1)
	v_fmac_f32_e32 v103, v39, v119
	ds_bpermute_b32 v120, v19, v103
	s_waitcnt lgkmcnt(0)
	v_add_f32_e32 v103, v103, v120
	ds_bpermute_b32 v120, v20, v103
	s_waitcnt lgkmcnt(0)
	v_add_f32_e32 v103, v103, v120
	;; [unrolled: 3-line block ×3, first 2 shown]
                                        ; implicit-def: $vgpr120
	s_delay_alu instid0(VALU_DEP_1) | instskip(NEXT) | instid1(VALU_DEP_1)
	v_cmp_ngt_f32_e64 s37, 0x3f200000, |v103|
	s_and_saveexec_b32 s38, s37
	s_delay_alu instid0(SALU_CYCLE_1)
	s_xor_b32 s37, exec_lo, s38
	s_cbranch_execz .LBB22_52
; %bb.51:                               ;   in Loop: Header=BB22_14 Depth=1
	v_add_f32_e64 v120, |v103|, |v103|
	s_delay_alu instid0(VALU_DEP_1) | instskip(SKIP_1) | instid1(VALU_DEP_2)
	v_mul_f32_e32 v121, 0x3fb8aa3b, v120
	v_cmp_ngt_f32_e32 vcc_lo, 0xc2ce8ed0, v120
	v_rndne_f32_e32 v122, v121
	v_fma_f32 v123, 0x3fb8aa3b, v120, -v121
	s_delay_alu instid0(VALU_DEP_2) | instskip(NEXT) | instid1(VALU_DEP_2)
	v_sub_f32_e32 v121, v121, v122
	v_fmac_f32_e32 v123, 0x32a5705f, v120
	v_cvt_i32_f32_e32 v122, v122
	s_delay_alu instid0(VALU_DEP_2) | instskip(NEXT) | instid1(VALU_DEP_1)
	v_add_f32_e32 v121, v121, v123
	v_exp_f32_e32 v121, v121
	s_waitcnt_depctr 0xfff
	v_ldexp_f32 v121, v121, v122
	s_delay_alu instid0(VALU_DEP_1) | instskip(SKIP_1) | instid1(VALU_DEP_2)
	v_cndmask_b32_e32 v121, 0, v121, vcc_lo
	v_cmp_nlt_f32_e32 vcc_lo, 0x42b17218, v120
	v_cndmask_b32_e32 v120, 0x7f800000, v121, vcc_lo
	s_delay_alu instid0(VALU_DEP_1) | instskip(NEXT) | instid1(VALU_DEP_1)
	v_add_f32_e32 v120, 1.0, v120
	v_rcp_f32_e32 v120, v120
	s_waitcnt_depctr 0xfff
	v_fma_f32 v120, v120, -2.0, 1.0
.LBB22_52:                              ;   in Loop: Header=BB22_14 Depth=1
	s_and_not1_saveexec_b32 s37, s37
; %bb.53:                               ;   in Loop: Header=BB22_14 Depth=1
	v_mul_f32_e32 v120, v103, v103
	s_delay_alu instid0(VALU_DEP_1) | instskip(NEXT) | instid1(VALU_DEP_1)
	v_fmaak_f32 v121, s36, v120, 0x3ca908c9
	v_fmaak_f32 v121, v120, v121, 0xbd5c1c4e
	s_delay_alu instid0(VALU_DEP_1) | instskip(NEXT) | instid1(VALU_DEP_1)
	v_fmaak_f32 v121, v120, v121, 0x3e088382
	v_fmaak_f32 v121, v120, v121, 0xbeaaaa99
	s_delay_alu instid0(VALU_DEP_1) | instskip(NEXT) | instid1(VALU_DEP_1)
	v_mul_f32_e64 v121, |v103|, v121
	v_fma_f32 v120, v120, v121, |v103|
; %bb.54:                               ;   in Loop: Header=BB22_14 Depth=1
	s_or_b32 exec_lo, exec_lo, s37
	s_delay_alu instid0(VALU_DEP_1) | instskip(SKIP_1) | instid1(VALU_DEP_1)
	v_bfi_b32 v103, 0x7fffffff, v120, v103
	s_and_not1_b32 vcc_lo, exec_lo, s26
	v_mul_f32_e32 v103, s41, v103
	s_cbranch_vccnz .LBB22_56
; %bb.55:                               ;   in Loop: Header=BB22_14 Depth=1
	global_load_u16 v120, v99, s[18:19] offset:6
	s_waitcnt vmcnt(0)
	v_fma_mix_f32 v103, v16, v120, v103 op_sel_hi:[0,1,0]
.LBB22_56:                              ;   in Loop: Header=BB22_14 Depth=1
	v_fma_f32 v105, v105, v40, 0
	s_delay_alu instid0(VALU_DEP_1) | instskip(NEXT) | instid1(VALU_DEP_1)
	v_fmac_f32_e32 v105, v104, v41
	v_fmac_f32_e32 v105, v106, v42
	s_delay_alu instid0(VALU_DEP_1) | instskip(NEXT) | instid1(VALU_DEP_1)
	v_fmac_f32_e32 v105, v107, v43
	v_fmac_f32_e32 v105, v108, v44
	;; [unrolled: 3-line block ×7, first 2 shown]
	s_delay_alu instid0(VALU_DEP_1)
	v_fmac_f32_e32 v105, v119, v59
	ds_bpermute_b32 v104, v19, v105
	s_waitcnt lgkmcnt(0)
	v_add_f32_e32 v104, v105, v104
	ds_bpermute_b32 v105, v20, v104
	s_waitcnt lgkmcnt(0)
	v_add_f32_e32 v104, v104, v105
	;; [unrolled: 3-line block ×3, first 2 shown]
                                        ; implicit-def: $vgpr105
	s_delay_alu instid0(VALU_DEP_1) | instskip(NEXT) | instid1(VALU_DEP_1)
	v_cmp_ngt_f32_e64 s37, 0x3f200000, |v104|
	s_and_saveexec_b32 s38, s37
	s_delay_alu instid0(SALU_CYCLE_1)
	s_xor_b32 s37, exec_lo, s38
	s_cbranch_execz .LBB22_58
; %bb.57:                               ;   in Loop: Header=BB22_14 Depth=1
	v_add_f32_e64 v105, |v104|, |v104|
	s_delay_alu instid0(VALU_DEP_1) | instskip(SKIP_1) | instid1(VALU_DEP_2)
	v_mul_f32_e32 v106, 0x3fb8aa3b, v105
	v_cmp_ngt_f32_e32 vcc_lo, 0xc2ce8ed0, v105
	v_rndne_f32_e32 v107, v106
	v_fma_f32 v108, 0x3fb8aa3b, v105, -v106
	s_delay_alu instid0(VALU_DEP_2) | instskip(NEXT) | instid1(VALU_DEP_2)
	v_sub_f32_e32 v106, v106, v107
	v_fmac_f32_e32 v108, 0x32a5705f, v105
	v_cvt_i32_f32_e32 v107, v107
	s_delay_alu instid0(VALU_DEP_2) | instskip(NEXT) | instid1(VALU_DEP_1)
	v_add_f32_e32 v106, v106, v108
	v_exp_f32_e32 v106, v106
	s_waitcnt_depctr 0xfff
	v_ldexp_f32 v106, v106, v107
	s_delay_alu instid0(VALU_DEP_1) | instskip(SKIP_1) | instid1(VALU_DEP_2)
	v_cndmask_b32_e32 v106, 0, v106, vcc_lo
	v_cmp_nlt_f32_e32 vcc_lo, 0x42b17218, v105
	v_cndmask_b32_e32 v105, 0x7f800000, v106, vcc_lo
	s_delay_alu instid0(VALU_DEP_1) | instskip(NEXT) | instid1(VALU_DEP_1)
	v_add_f32_e32 v105, 1.0, v105
	v_rcp_f32_e32 v105, v105
	s_waitcnt_depctr 0xfff
	v_fma_f32 v105, v105, -2.0, 1.0
.LBB22_58:                              ;   in Loop: Header=BB22_14 Depth=1
	s_and_not1_saveexec_b32 s37, s37
; %bb.59:                               ;   in Loop: Header=BB22_14 Depth=1
	v_mul_f32_e32 v105, v104, v104
	s_delay_alu instid0(VALU_DEP_1) | instskip(NEXT) | instid1(VALU_DEP_1)
	v_fmaak_f32 v106, s36, v105, 0x3ca908c9
	v_fmaak_f32 v106, v105, v106, 0xbd5c1c4e
	s_delay_alu instid0(VALU_DEP_1) | instskip(NEXT) | instid1(VALU_DEP_1)
	v_fmaak_f32 v106, v105, v106, 0x3e088382
	v_fmaak_f32 v106, v105, v106, 0xbeaaaa99
	s_delay_alu instid0(VALU_DEP_1) | instskip(NEXT) | instid1(VALU_DEP_1)
	v_mul_f32_e64 v106, |v104|, v106
	v_fma_f32 v105, v105, v106, |v104|
; %bb.60:                               ;   in Loop: Header=BB22_14 Depth=1
	s_or_b32 exec_lo, exec_lo, s37
	s_delay_alu instid0(VALU_DEP_1) | instskip(SKIP_1) | instid1(VALU_DEP_1)
	v_bfi_b32 v104, 0x7fffffff, v105, v104
	s_and_not1_b32 vcc_lo, exec_lo, s27
	v_mul_f32_e32 v104, s41, v104
	s_cbranch_vccnz .LBB22_62
; %bb.61:                               ;   in Loop: Header=BB22_14 Depth=1
	v_add_co_u32 v105, vcc_lo, s18, v4
	v_add_co_ci_u32_e32 v106, vcc_lo, s19, v5, vcc_lo
	global_load_u16 v105, v[105:106], off offset:6
	s_waitcnt vmcnt(0)
	v_fma_mix_f32 v104, v16, v105, v104 op_sel_hi:[0,1,0]
.LBB22_62:                              ;   in Loop: Header=BB22_14 Depth=1
	v_add_co_u32 v105, vcc_lo, v100, v58
	v_add_co_ci_u32_e32 v106, vcc_lo, v101, v65, vcc_lo
	s_clause 0x1
	global_load_b128 v[110:113], v[105:106], off
	global_load_b128 v[118:121], v[105:106], off offset:128
	s_waitcnt vmcnt(1)
	v_lshlrev_b32_e32 v107, 16, v110
	v_and_b32_e32 v109, 0xffff0000, v111
	v_and_b32_e32 v106, 0xffff0000, v110
	s_waitcnt vmcnt(0)
	v_and_b32_e32 v115, 0xffff0000, v118
	v_and_b32_e32 v117, 0xffff0000, v119
	v_fma_f32 v105, v107, v24, 0
	v_lshlrev_b32_e32 v108, 16, v111
	v_and_b32_e32 v111, 0xffff0000, v112
	v_lshlrev_b32_e32 v110, 16, v112
	v_lshlrev_b32_e32 v112, 16, v113
	v_fmac_f32_e32 v105, v106, v25
	v_and_b32_e32 v113, 0xffff0000, v113
	v_lshlrev_b32_e32 v114, 16, v118
	v_lshlrev_b32_e32 v116, 16, v119
	v_and_b32_e32 v119, 0xffff0000, v120
	v_dual_fmac_f32 v105, v108, v26 :: v_dual_lshlrev_b32 v118, 16, v120
	v_lshlrev_b32_e32 v120, 16, v121
	v_and_b32_e32 v121, 0xffff0000, v121
	s_delay_alu instid0(VALU_DEP_3) | instskip(NEXT) | instid1(VALU_DEP_1)
	v_fmac_f32_e32 v105, v109, v27
	v_fmac_f32_e32 v105, v110, v28
	s_delay_alu instid0(VALU_DEP_1) | instskip(NEXT) | instid1(VALU_DEP_1)
	v_fmac_f32_e32 v105, v111, v29
	v_fmac_f32_e32 v105, v112, v30
	s_delay_alu instid0(VALU_DEP_1) | instskip(NEXT) | instid1(VALU_DEP_1)
	;; [unrolled: 3-line block ×5, first 2 shown]
	v_fmac_f32_e32 v105, v37, v119
	v_fmac_f32_e32 v105, v38, v120
	s_delay_alu instid0(VALU_DEP_1)
	v_fmac_f32_e32 v105, v39, v121
	ds_bpermute_b32 v122, v19, v105
	s_waitcnt lgkmcnt(0)
	v_add_f32_e32 v105, v105, v122
	ds_bpermute_b32 v122, v20, v105
	s_waitcnt lgkmcnt(0)
	v_add_f32_e32 v105, v105, v122
	;; [unrolled: 3-line block ×3, first 2 shown]
                                        ; implicit-def: $vgpr122
	s_delay_alu instid0(VALU_DEP_1) | instskip(NEXT) | instid1(VALU_DEP_1)
	v_cmp_ngt_f32_e64 s37, 0x3f200000, |v105|
	s_and_saveexec_b32 s38, s37
	s_delay_alu instid0(SALU_CYCLE_1)
	s_xor_b32 s37, exec_lo, s38
	s_cbranch_execz .LBB22_64
; %bb.63:                               ;   in Loop: Header=BB22_14 Depth=1
	v_add_f32_e64 v122, |v105|, |v105|
	s_delay_alu instid0(VALU_DEP_1) | instskip(SKIP_1) | instid1(VALU_DEP_2)
	v_mul_f32_e32 v123, 0x3fb8aa3b, v122
	v_cmp_ngt_f32_e32 vcc_lo, 0xc2ce8ed0, v122
	v_rndne_f32_e32 v124, v123
	v_fma_f32 v125, 0x3fb8aa3b, v122, -v123
	s_delay_alu instid0(VALU_DEP_2) | instskip(NEXT) | instid1(VALU_DEP_2)
	v_sub_f32_e32 v123, v123, v124
	v_fmac_f32_e32 v125, 0x32a5705f, v122
	v_cvt_i32_f32_e32 v124, v124
	s_delay_alu instid0(VALU_DEP_2) | instskip(NEXT) | instid1(VALU_DEP_1)
	v_add_f32_e32 v123, v123, v125
	v_exp_f32_e32 v123, v123
	s_waitcnt_depctr 0xfff
	v_ldexp_f32 v123, v123, v124
	s_delay_alu instid0(VALU_DEP_1) | instskip(SKIP_1) | instid1(VALU_DEP_2)
	v_cndmask_b32_e32 v123, 0, v123, vcc_lo
	v_cmp_nlt_f32_e32 vcc_lo, 0x42b17218, v122
	v_cndmask_b32_e32 v122, 0x7f800000, v123, vcc_lo
	s_delay_alu instid0(VALU_DEP_1) | instskip(NEXT) | instid1(VALU_DEP_1)
	v_add_f32_e32 v122, 1.0, v122
	v_rcp_f32_e32 v122, v122
	s_waitcnt_depctr 0xfff
	v_fma_f32 v122, v122, -2.0, 1.0
.LBB22_64:                              ;   in Loop: Header=BB22_14 Depth=1
	s_and_not1_saveexec_b32 s37, s37
; %bb.65:                               ;   in Loop: Header=BB22_14 Depth=1
	v_mul_f32_e32 v122, v105, v105
	s_delay_alu instid0(VALU_DEP_1) | instskip(NEXT) | instid1(VALU_DEP_1)
	v_fmaak_f32 v123, s36, v122, 0x3ca908c9
	v_fmaak_f32 v123, v122, v123, 0xbd5c1c4e
	s_delay_alu instid0(VALU_DEP_1) | instskip(NEXT) | instid1(VALU_DEP_1)
	v_fmaak_f32 v123, v122, v123, 0x3e088382
	v_fmaak_f32 v123, v122, v123, 0xbeaaaa99
	s_delay_alu instid0(VALU_DEP_1) | instskip(NEXT) | instid1(VALU_DEP_1)
	v_mul_f32_e64 v123, |v105|, v123
	v_fma_f32 v122, v122, v123, |v105|
; %bb.66:                               ;   in Loop: Header=BB22_14 Depth=1
	s_or_b32 exec_lo, exec_lo, s37
	s_delay_alu instid0(VALU_DEP_1) | instskip(SKIP_1) | instid1(VALU_DEP_1)
	v_bfi_b32 v105, 0x7fffffff, v122, v105
	s_and_not1_b32 vcc_lo, exec_lo, s26
	v_mul_f32_e32 v105, s41, v105
	s_cbranch_vccnz .LBB22_68
; %bb.67:                               ;   in Loop: Header=BB22_14 Depth=1
	global_load_u16 v122, v99, s[18:19] offset:8
	s_waitcnt vmcnt(0)
	v_fma_mix_f32 v105, v16, v122, v105 op_sel_hi:[0,1,0]
.LBB22_68:                              ;   in Loop: Header=BB22_14 Depth=1
	v_fma_f32 v107, v107, v40, 0
	s_delay_alu instid0(VALU_DEP_1) | instskip(NEXT) | instid1(VALU_DEP_1)
	v_fmac_f32_e32 v107, v106, v41
	v_fmac_f32_e32 v107, v108, v42
	s_delay_alu instid0(VALU_DEP_1) | instskip(NEXT) | instid1(VALU_DEP_1)
	v_fmac_f32_e32 v107, v109, v43
	v_fmac_f32_e32 v107, v110, v44
	;; [unrolled: 3-line block ×7, first 2 shown]
	s_delay_alu instid0(VALU_DEP_1)
	v_fmac_f32_e32 v107, v121, v59
	ds_bpermute_b32 v106, v19, v107
	s_waitcnt lgkmcnt(0)
	v_add_f32_e32 v106, v107, v106
	ds_bpermute_b32 v107, v20, v106
	s_waitcnt lgkmcnt(0)
	v_add_f32_e32 v106, v106, v107
	;; [unrolled: 3-line block ×3, first 2 shown]
                                        ; implicit-def: $vgpr107
	s_delay_alu instid0(VALU_DEP_1) | instskip(NEXT) | instid1(VALU_DEP_1)
	v_cmp_ngt_f32_e64 s37, 0x3f200000, |v106|
	s_and_saveexec_b32 s38, s37
	s_delay_alu instid0(SALU_CYCLE_1)
	s_xor_b32 s37, exec_lo, s38
	s_cbranch_execz .LBB22_70
; %bb.69:                               ;   in Loop: Header=BB22_14 Depth=1
	v_add_f32_e64 v107, |v106|, |v106|
	s_delay_alu instid0(VALU_DEP_1) | instskip(SKIP_1) | instid1(VALU_DEP_2)
	v_mul_f32_e32 v108, 0x3fb8aa3b, v107
	v_cmp_ngt_f32_e32 vcc_lo, 0xc2ce8ed0, v107
	v_rndne_f32_e32 v109, v108
	v_fma_f32 v110, 0x3fb8aa3b, v107, -v108
	s_delay_alu instid0(VALU_DEP_2) | instskip(NEXT) | instid1(VALU_DEP_2)
	v_sub_f32_e32 v108, v108, v109
	v_fmac_f32_e32 v110, 0x32a5705f, v107
	v_cvt_i32_f32_e32 v109, v109
	s_delay_alu instid0(VALU_DEP_2) | instskip(NEXT) | instid1(VALU_DEP_1)
	v_add_f32_e32 v108, v108, v110
	v_exp_f32_e32 v108, v108
	s_waitcnt_depctr 0xfff
	v_ldexp_f32 v108, v108, v109
	s_delay_alu instid0(VALU_DEP_1) | instskip(SKIP_1) | instid1(VALU_DEP_2)
	v_cndmask_b32_e32 v108, 0, v108, vcc_lo
	v_cmp_nlt_f32_e32 vcc_lo, 0x42b17218, v107
	v_cndmask_b32_e32 v107, 0x7f800000, v108, vcc_lo
	s_delay_alu instid0(VALU_DEP_1) | instskip(NEXT) | instid1(VALU_DEP_1)
	v_add_f32_e32 v107, 1.0, v107
	v_rcp_f32_e32 v107, v107
	s_waitcnt_depctr 0xfff
	v_fma_f32 v107, v107, -2.0, 1.0
.LBB22_70:                              ;   in Loop: Header=BB22_14 Depth=1
	s_and_not1_saveexec_b32 s37, s37
; %bb.71:                               ;   in Loop: Header=BB22_14 Depth=1
	v_mul_f32_e32 v107, v106, v106
	s_delay_alu instid0(VALU_DEP_1) | instskip(NEXT) | instid1(VALU_DEP_1)
	v_fmaak_f32 v108, s36, v107, 0x3ca908c9
	v_fmaak_f32 v108, v107, v108, 0xbd5c1c4e
	s_delay_alu instid0(VALU_DEP_1) | instskip(NEXT) | instid1(VALU_DEP_1)
	v_fmaak_f32 v108, v107, v108, 0x3e088382
	v_fmaak_f32 v108, v107, v108, 0xbeaaaa99
	s_delay_alu instid0(VALU_DEP_1) | instskip(NEXT) | instid1(VALU_DEP_1)
	v_mul_f32_e64 v108, |v106|, v108
	v_fma_f32 v107, v107, v108, |v106|
; %bb.72:                               ;   in Loop: Header=BB22_14 Depth=1
	s_or_b32 exec_lo, exec_lo, s37
	s_delay_alu instid0(VALU_DEP_1) | instskip(SKIP_1) | instid1(VALU_DEP_1)
	v_bfi_b32 v106, 0x7fffffff, v107, v106
	s_and_not1_b32 vcc_lo, exec_lo, s27
	v_mul_f32_e32 v106, s41, v106
	s_cbranch_vccnz .LBB22_74
; %bb.73:                               ;   in Loop: Header=BB22_14 Depth=1
	v_add_co_u32 v107, vcc_lo, s18, v4
	v_add_co_ci_u32_e32 v108, vcc_lo, s19, v5, vcc_lo
	global_load_u16 v107, v[107:108], off offset:8
	s_waitcnt vmcnt(0)
	v_fma_mix_f32 v106, v16, v107, v106 op_sel_hi:[0,1,0]
.LBB22_74:                              ;   in Loop: Header=BB22_14 Depth=1
	v_add_co_u32 v107, vcc_lo, v100, v61
	v_add_co_ci_u32_e32 v108, vcc_lo, v101, v66, vcc_lo
	s_clause 0x1
	global_load_b128 v[112:115], v[107:108], off
	global_load_b128 v[120:123], v[107:108], off offset:128
	s_waitcnt vmcnt(1)
	v_lshlrev_b32_e32 v109, 16, v112
	v_and_b32_e32 v111, 0xffff0000, v113
	v_lshlrev_b32_e32 v110, 16, v113
	v_and_b32_e32 v108, 0xffff0000, v112
	v_and_b32_e32 v113, 0xffff0000, v114
	v_fma_f32 v107, v109, v24, 0
	s_waitcnt vmcnt(0)
	v_and_b32_e32 v117, 0xffff0000, v120
	v_and_b32_e32 v119, 0xffff0000, v121
	v_lshlrev_b32_e32 v112, 16, v114
	v_dual_fmac_f32 v107, v108, v25 :: v_dual_lshlrev_b32 v114, 16, v115
	v_and_b32_e32 v115, 0xffff0000, v115
	v_lshlrev_b32_e32 v116, 16, v120
	v_lshlrev_b32_e32 v118, 16, v121
	v_and_b32_e32 v121, 0xffff0000, v122
	v_fmac_f32_e32 v107, v110, v26
	v_lshlrev_b32_e32 v120, 16, v122
	v_lshlrev_b32_e32 v122, 16, v123
	v_and_b32_e32 v123, 0xffff0000, v123
	s_delay_alu instid0(VALU_DEP_4) | instskip(NEXT) | instid1(VALU_DEP_1)
	v_fmac_f32_e32 v107, v111, v27
	v_fmac_f32_e32 v107, v112, v28
	s_delay_alu instid0(VALU_DEP_1) | instskip(NEXT) | instid1(VALU_DEP_1)
	v_fmac_f32_e32 v107, v113, v29
	v_fmac_f32_e32 v107, v114, v30
	s_delay_alu instid0(VALU_DEP_1) | instskip(NEXT) | instid1(VALU_DEP_1)
	;; [unrolled: 3-line block ×5, first 2 shown]
	v_fmac_f32_e32 v107, v37, v121
	v_fmac_f32_e32 v107, v38, v122
	s_delay_alu instid0(VALU_DEP_1)
	v_fmac_f32_e32 v107, v39, v123
	ds_bpermute_b32 v124, v19, v107
	s_waitcnt lgkmcnt(0)
	v_add_f32_e32 v107, v107, v124
	ds_bpermute_b32 v124, v20, v107
	s_waitcnt lgkmcnt(0)
	v_add_f32_e32 v107, v107, v124
	;; [unrolled: 3-line block ×3, first 2 shown]
                                        ; implicit-def: $vgpr124
	s_delay_alu instid0(VALU_DEP_1) | instskip(NEXT) | instid1(VALU_DEP_1)
	v_cmp_ngt_f32_e64 s37, 0x3f200000, |v107|
	s_and_saveexec_b32 s38, s37
	s_delay_alu instid0(SALU_CYCLE_1)
	s_xor_b32 s37, exec_lo, s38
	s_cbranch_execz .LBB22_76
; %bb.75:                               ;   in Loop: Header=BB22_14 Depth=1
	v_add_f32_e64 v124, |v107|, |v107|
	s_delay_alu instid0(VALU_DEP_1) | instskip(SKIP_1) | instid1(VALU_DEP_2)
	v_mul_f32_e32 v125, 0x3fb8aa3b, v124
	v_cmp_ngt_f32_e32 vcc_lo, 0xc2ce8ed0, v124
	v_rndne_f32_e32 v126, v125
	v_fma_f32 v127, 0x3fb8aa3b, v124, -v125
	s_delay_alu instid0(VALU_DEP_2) | instskip(NEXT) | instid1(VALU_DEP_2)
	v_sub_f32_e32 v125, v125, v126
	v_fmac_f32_e32 v127, 0x32a5705f, v124
	v_cvt_i32_f32_e32 v126, v126
	s_delay_alu instid0(VALU_DEP_2) | instskip(NEXT) | instid1(VALU_DEP_1)
	v_add_f32_e32 v125, v125, v127
	v_exp_f32_e32 v125, v125
	s_waitcnt_depctr 0xfff
	v_ldexp_f32 v125, v125, v126
	s_delay_alu instid0(VALU_DEP_1) | instskip(SKIP_1) | instid1(VALU_DEP_2)
	v_cndmask_b32_e32 v125, 0, v125, vcc_lo
	v_cmp_nlt_f32_e32 vcc_lo, 0x42b17218, v124
	v_cndmask_b32_e32 v124, 0x7f800000, v125, vcc_lo
	s_delay_alu instid0(VALU_DEP_1) | instskip(NEXT) | instid1(VALU_DEP_1)
	v_add_f32_e32 v124, 1.0, v124
	v_rcp_f32_e32 v124, v124
	s_waitcnt_depctr 0xfff
	v_fma_f32 v124, v124, -2.0, 1.0
.LBB22_76:                              ;   in Loop: Header=BB22_14 Depth=1
	s_and_not1_saveexec_b32 s37, s37
; %bb.77:                               ;   in Loop: Header=BB22_14 Depth=1
	v_mul_f32_e32 v124, v107, v107
	s_delay_alu instid0(VALU_DEP_1) | instskip(NEXT) | instid1(VALU_DEP_1)
	v_fmaak_f32 v125, s36, v124, 0x3ca908c9
	v_fmaak_f32 v125, v124, v125, 0xbd5c1c4e
	s_delay_alu instid0(VALU_DEP_1) | instskip(NEXT) | instid1(VALU_DEP_1)
	v_fmaak_f32 v125, v124, v125, 0x3e088382
	v_fmaak_f32 v125, v124, v125, 0xbeaaaa99
	s_delay_alu instid0(VALU_DEP_1) | instskip(NEXT) | instid1(VALU_DEP_1)
	v_mul_f32_e64 v125, |v107|, v125
	v_fma_f32 v124, v124, v125, |v107|
; %bb.78:                               ;   in Loop: Header=BB22_14 Depth=1
	s_or_b32 exec_lo, exec_lo, s37
	s_delay_alu instid0(VALU_DEP_1) | instskip(SKIP_1) | instid1(VALU_DEP_1)
	v_bfi_b32 v107, 0x7fffffff, v124, v107
	s_and_not1_b32 vcc_lo, exec_lo, s26
	v_mul_f32_e32 v107, s41, v107
	s_cbranch_vccnz .LBB22_80
; %bb.79:                               ;   in Loop: Header=BB22_14 Depth=1
	global_load_u16 v124, v99, s[18:19] offset:10
	s_waitcnt vmcnt(0)
	v_fma_mix_f32 v107, v16, v124, v107 op_sel_hi:[0,1,0]
.LBB22_80:                              ;   in Loop: Header=BB22_14 Depth=1
	v_fma_f32 v109, v109, v40, 0
	s_delay_alu instid0(VALU_DEP_1) | instskip(NEXT) | instid1(VALU_DEP_1)
	v_fmac_f32_e32 v109, v108, v41
	v_fmac_f32_e32 v109, v110, v42
	s_delay_alu instid0(VALU_DEP_1) | instskip(NEXT) | instid1(VALU_DEP_1)
	v_fmac_f32_e32 v109, v111, v43
	v_fmac_f32_e32 v109, v112, v44
	;; [unrolled: 3-line block ×7, first 2 shown]
	s_delay_alu instid0(VALU_DEP_1)
	v_fmac_f32_e32 v109, v123, v59
	ds_bpermute_b32 v108, v19, v109
	s_waitcnt lgkmcnt(0)
	v_add_f32_e32 v108, v109, v108
	ds_bpermute_b32 v109, v20, v108
	s_waitcnt lgkmcnt(0)
	v_add_f32_e32 v108, v108, v109
	ds_bpermute_b32 v109, v21, v108
	s_waitcnt lgkmcnt(0)
	v_add_f32_e32 v108, v108, v109
                                        ; implicit-def: $vgpr109
	s_delay_alu instid0(VALU_DEP_1) | instskip(NEXT) | instid1(VALU_DEP_1)
	v_cmp_ngt_f32_e64 s37, 0x3f200000, |v108|
	s_and_saveexec_b32 s38, s37
	s_delay_alu instid0(SALU_CYCLE_1)
	s_xor_b32 s37, exec_lo, s38
	s_cbranch_execz .LBB22_82
; %bb.81:                               ;   in Loop: Header=BB22_14 Depth=1
	v_add_f32_e64 v109, |v108|, |v108|
	s_delay_alu instid0(VALU_DEP_1) | instskip(SKIP_1) | instid1(VALU_DEP_2)
	v_mul_f32_e32 v110, 0x3fb8aa3b, v109
	v_cmp_ngt_f32_e32 vcc_lo, 0xc2ce8ed0, v109
	v_rndne_f32_e32 v111, v110
	v_fma_f32 v112, 0x3fb8aa3b, v109, -v110
	s_delay_alu instid0(VALU_DEP_2) | instskip(NEXT) | instid1(VALU_DEP_2)
	v_sub_f32_e32 v110, v110, v111
	v_fmac_f32_e32 v112, 0x32a5705f, v109
	v_cvt_i32_f32_e32 v111, v111
	s_delay_alu instid0(VALU_DEP_2) | instskip(NEXT) | instid1(VALU_DEP_1)
	v_add_f32_e32 v110, v110, v112
	v_exp_f32_e32 v110, v110
	s_waitcnt_depctr 0xfff
	v_ldexp_f32 v110, v110, v111
	s_delay_alu instid0(VALU_DEP_1) | instskip(SKIP_1) | instid1(VALU_DEP_2)
	v_cndmask_b32_e32 v110, 0, v110, vcc_lo
	v_cmp_nlt_f32_e32 vcc_lo, 0x42b17218, v109
	v_cndmask_b32_e32 v109, 0x7f800000, v110, vcc_lo
	s_delay_alu instid0(VALU_DEP_1) | instskip(NEXT) | instid1(VALU_DEP_1)
	v_add_f32_e32 v109, 1.0, v109
	v_rcp_f32_e32 v109, v109
	s_waitcnt_depctr 0xfff
	v_fma_f32 v109, v109, -2.0, 1.0
.LBB22_82:                              ;   in Loop: Header=BB22_14 Depth=1
	s_and_not1_saveexec_b32 s37, s37
; %bb.83:                               ;   in Loop: Header=BB22_14 Depth=1
	v_mul_f32_e32 v109, v108, v108
	s_delay_alu instid0(VALU_DEP_1) | instskip(NEXT) | instid1(VALU_DEP_1)
	v_fmaak_f32 v110, s36, v109, 0x3ca908c9
	v_fmaak_f32 v110, v109, v110, 0xbd5c1c4e
	s_delay_alu instid0(VALU_DEP_1) | instskip(NEXT) | instid1(VALU_DEP_1)
	v_fmaak_f32 v110, v109, v110, 0x3e088382
	v_fmaak_f32 v110, v109, v110, 0xbeaaaa99
	s_delay_alu instid0(VALU_DEP_1) | instskip(NEXT) | instid1(VALU_DEP_1)
	v_mul_f32_e64 v110, |v108|, v110
	v_fma_f32 v109, v109, v110, |v108|
; %bb.84:                               ;   in Loop: Header=BB22_14 Depth=1
	s_or_b32 exec_lo, exec_lo, s37
	s_delay_alu instid0(VALU_DEP_1) | instskip(SKIP_1) | instid1(VALU_DEP_1)
	v_bfi_b32 v108, 0x7fffffff, v109, v108
	s_and_not1_b32 vcc_lo, exec_lo, s27
	v_mul_f32_e32 v108, s41, v108
	s_cbranch_vccnz .LBB22_86
; %bb.85:                               ;   in Loop: Header=BB22_14 Depth=1
	v_add_co_u32 v109, vcc_lo, s18, v4
	v_add_co_ci_u32_e32 v110, vcc_lo, s19, v5, vcc_lo
	global_load_u16 v109, v[109:110], off offset:10
	s_waitcnt vmcnt(0)
	v_fma_mix_f32 v108, v16, v109, v108 op_sel_hi:[0,1,0]
.LBB22_86:                              ;   in Loop: Header=BB22_14 Depth=1
	v_add_co_u32 v109, vcc_lo, v100, v64
	v_add_co_ci_u32_e32 v110, vcc_lo, v101, v68, vcc_lo
	s_clause 0x1
	global_load_b128 v[114:117], v[109:110], off
	global_load_b128 v[122:125], v[109:110], off offset:128
	s_waitcnt vmcnt(1)
	v_lshlrev_b32_e32 v111, 16, v114
	v_and_b32_e32 v113, 0xffff0000, v115
	v_and_b32_e32 v110, 0xffff0000, v114
	s_waitcnt vmcnt(0)
	v_and_b32_e32 v119, 0xffff0000, v122
	v_and_b32_e32 v121, 0xffff0000, v123
	v_fma_f32 v109, v111, v24, 0
	v_lshlrev_b32_e32 v112, 16, v115
	v_and_b32_e32 v115, 0xffff0000, v116
	v_lshlrev_b32_e32 v114, 16, v116
	v_lshlrev_b32_e32 v116, 16, v117
	v_fmac_f32_e32 v109, v110, v25
	v_and_b32_e32 v117, 0xffff0000, v117
	v_lshlrev_b32_e32 v118, 16, v122
	v_lshlrev_b32_e32 v120, 16, v123
	v_and_b32_e32 v123, 0xffff0000, v124
	v_dual_fmac_f32 v109, v112, v26 :: v_dual_lshlrev_b32 v122, 16, v124
	v_lshlrev_b32_e32 v124, 16, v125
	v_and_b32_e32 v125, 0xffff0000, v125
	s_delay_alu instid0(VALU_DEP_3) | instskip(NEXT) | instid1(VALU_DEP_1)
	v_fmac_f32_e32 v109, v113, v27
	v_fmac_f32_e32 v109, v114, v28
	s_delay_alu instid0(VALU_DEP_1) | instskip(NEXT) | instid1(VALU_DEP_1)
	v_fmac_f32_e32 v109, v115, v29
	v_fmac_f32_e32 v109, v116, v30
	s_delay_alu instid0(VALU_DEP_1) | instskip(NEXT) | instid1(VALU_DEP_1)
	;; [unrolled: 3-line block ×5, first 2 shown]
	v_fmac_f32_e32 v109, v37, v123
	v_fmac_f32_e32 v109, v38, v124
	s_delay_alu instid0(VALU_DEP_1)
	v_fmac_f32_e32 v109, v39, v125
	ds_bpermute_b32 v126, v19, v109
	s_waitcnt lgkmcnt(0)
	v_add_f32_e32 v109, v109, v126
	ds_bpermute_b32 v126, v20, v109
	s_waitcnt lgkmcnt(0)
	v_add_f32_e32 v109, v109, v126
	;; [unrolled: 3-line block ×3, first 2 shown]
                                        ; implicit-def: $vgpr126
	s_delay_alu instid0(VALU_DEP_1) | instskip(NEXT) | instid1(VALU_DEP_1)
	v_cmp_ngt_f32_e64 s37, 0x3f200000, |v109|
	s_and_saveexec_b32 s38, s37
	s_delay_alu instid0(SALU_CYCLE_1)
	s_xor_b32 s37, exec_lo, s38
	s_cbranch_execz .LBB22_88
; %bb.87:                               ;   in Loop: Header=BB22_14 Depth=1
	v_add_f32_e64 v126, |v109|, |v109|
	s_delay_alu instid0(VALU_DEP_1) | instskip(SKIP_1) | instid1(VALU_DEP_2)
	v_mul_f32_e32 v127, 0x3fb8aa3b, v126
	v_cmp_ngt_f32_e32 vcc_lo, 0xc2ce8ed0, v126
	v_rndne_f32_e32 v128, v127
	v_fma_f32 v129, 0x3fb8aa3b, v126, -v127
	s_delay_alu instid0(VALU_DEP_2) | instskip(NEXT) | instid1(VALU_DEP_2)
	v_sub_f32_e32 v127, v127, v128
	v_fmac_f32_e32 v129, 0x32a5705f, v126
	v_cvt_i32_f32_e32 v128, v128
	s_delay_alu instid0(VALU_DEP_2) | instskip(NEXT) | instid1(VALU_DEP_1)
	v_add_f32_e32 v127, v127, v129
	v_exp_f32_e32 v127, v127
	s_waitcnt_depctr 0xfff
	v_ldexp_f32 v127, v127, v128
	s_delay_alu instid0(VALU_DEP_1) | instskip(SKIP_1) | instid1(VALU_DEP_2)
	v_cndmask_b32_e32 v127, 0, v127, vcc_lo
	v_cmp_nlt_f32_e32 vcc_lo, 0x42b17218, v126
	v_cndmask_b32_e32 v126, 0x7f800000, v127, vcc_lo
	s_delay_alu instid0(VALU_DEP_1) | instskip(NEXT) | instid1(VALU_DEP_1)
	v_add_f32_e32 v126, 1.0, v126
	v_rcp_f32_e32 v126, v126
	s_waitcnt_depctr 0xfff
	v_fma_f32 v126, v126, -2.0, 1.0
.LBB22_88:                              ;   in Loop: Header=BB22_14 Depth=1
	s_and_not1_saveexec_b32 s37, s37
; %bb.89:                               ;   in Loop: Header=BB22_14 Depth=1
	v_mul_f32_e32 v126, v109, v109
	s_delay_alu instid0(VALU_DEP_1) | instskip(NEXT) | instid1(VALU_DEP_1)
	v_fmaak_f32 v127, s36, v126, 0x3ca908c9
	v_fmaak_f32 v127, v126, v127, 0xbd5c1c4e
	s_delay_alu instid0(VALU_DEP_1) | instskip(NEXT) | instid1(VALU_DEP_1)
	v_fmaak_f32 v127, v126, v127, 0x3e088382
	v_fmaak_f32 v127, v126, v127, 0xbeaaaa99
	s_delay_alu instid0(VALU_DEP_1) | instskip(NEXT) | instid1(VALU_DEP_1)
	v_mul_f32_e64 v127, |v109|, v127
	v_fma_f32 v126, v126, v127, |v109|
; %bb.90:                               ;   in Loop: Header=BB22_14 Depth=1
	s_or_b32 exec_lo, exec_lo, s37
	s_delay_alu instid0(VALU_DEP_1) | instskip(SKIP_1) | instid1(VALU_DEP_1)
	v_bfi_b32 v109, 0x7fffffff, v126, v109
	s_and_not1_b32 vcc_lo, exec_lo, s26
	v_mul_f32_e32 v109, s41, v109
	s_cbranch_vccnz .LBB22_92
; %bb.91:                               ;   in Loop: Header=BB22_14 Depth=1
	global_load_u16 v126, v99, s[18:19] offset:12
	s_waitcnt vmcnt(0)
	v_fma_mix_f32 v109, v16, v126, v109 op_sel_hi:[0,1,0]
.LBB22_92:                              ;   in Loop: Header=BB22_14 Depth=1
	v_fma_f32 v111, v111, v40, 0
	s_delay_alu instid0(VALU_DEP_1) | instskip(NEXT) | instid1(VALU_DEP_1)
	v_fmac_f32_e32 v111, v110, v41
	v_fmac_f32_e32 v111, v112, v42
	s_delay_alu instid0(VALU_DEP_1) | instskip(NEXT) | instid1(VALU_DEP_1)
	v_fmac_f32_e32 v111, v113, v43
	v_fmac_f32_e32 v111, v114, v44
	;; [unrolled: 3-line block ×7, first 2 shown]
	s_delay_alu instid0(VALU_DEP_1)
	v_fmac_f32_e32 v111, v125, v59
	ds_bpermute_b32 v110, v19, v111
	s_waitcnt lgkmcnt(0)
	v_add_f32_e32 v110, v111, v110
	ds_bpermute_b32 v111, v20, v110
	s_waitcnt lgkmcnt(0)
	v_add_f32_e32 v110, v110, v111
	;; [unrolled: 3-line block ×3, first 2 shown]
                                        ; implicit-def: $vgpr111
	s_delay_alu instid0(VALU_DEP_1) | instskip(NEXT) | instid1(VALU_DEP_1)
	v_cmp_ngt_f32_e64 s37, 0x3f200000, |v110|
	s_and_saveexec_b32 s38, s37
	s_delay_alu instid0(SALU_CYCLE_1)
	s_xor_b32 s37, exec_lo, s38
	s_cbranch_execz .LBB22_94
; %bb.93:                               ;   in Loop: Header=BB22_14 Depth=1
	v_add_f32_e64 v111, |v110|, |v110|
	s_delay_alu instid0(VALU_DEP_1) | instskip(SKIP_1) | instid1(VALU_DEP_2)
	v_mul_f32_e32 v112, 0x3fb8aa3b, v111
	v_cmp_ngt_f32_e32 vcc_lo, 0xc2ce8ed0, v111
	v_rndne_f32_e32 v113, v112
	v_fma_f32 v114, 0x3fb8aa3b, v111, -v112
	s_delay_alu instid0(VALU_DEP_2) | instskip(NEXT) | instid1(VALU_DEP_2)
	v_sub_f32_e32 v112, v112, v113
	v_fmac_f32_e32 v114, 0x32a5705f, v111
	v_cvt_i32_f32_e32 v113, v113
	s_delay_alu instid0(VALU_DEP_2) | instskip(NEXT) | instid1(VALU_DEP_1)
	v_add_f32_e32 v112, v112, v114
	v_exp_f32_e32 v112, v112
	s_waitcnt_depctr 0xfff
	v_ldexp_f32 v112, v112, v113
	s_delay_alu instid0(VALU_DEP_1) | instskip(SKIP_1) | instid1(VALU_DEP_2)
	v_cndmask_b32_e32 v112, 0, v112, vcc_lo
	v_cmp_nlt_f32_e32 vcc_lo, 0x42b17218, v111
	v_cndmask_b32_e32 v111, 0x7f800000, v112, vcc_lo
	s_delay_alu instid0(VALU_DEP_1) | instskip(NEXT) | instid1(VALU_DEP_1)
	v_add_f32_e32 v111, 1.0, v111
	v_rcp_f32_e32 v111, v111
	s_waitcnt_depctr 0xfff
	v_fma_f32 v111, v111, -2.0, 1.0
.LBB22_94:                              ;   in Loop: Header=BB22_14 Depth=1
	s_and_not1_saveexec_b32 s37, s37
; %bb.95:                               ;   in Loop: Header=BB22_14 Depth=1
	v_mul_f32_e32 v111, v110, v110
	s_delay_alu instid0(VALU_DEP_1) | instskip(NEXT) | instid1(VALU_DEP_1)
	v_fmaak_f32 v112, s36, v111, 0x3ca908c9
	v_fmaak_f32 v112, v111, v112, 0xbd5c1c4e
	s_delay_alu instid0(VALU_DEP_1) | instskip(NEXT) | instid1(VALU_DEP_1)
	v_fmaak_f32 v112, v111, v112, 0x3e088382
	v_fmaak_f32 v112, v111, v112, 0xbeaaaa99
	s_delay_alu instid0(VALU_DEP_1) | instskip(NEXT) | instid1(VALU_DEP_1)
	v_mul_f32_e64 v112, |v110|, v112
	v_fma_f32 v111, v111, v112, |v110|
; %bb.96:                               ;   in Loop: Header=BB22_14 Depth=1
	s_or_b32 exec_lo, exec_lo, s37
	s_delay_alu instid0(VALU_DEP_1) | instskip(SKIP_1) | instid1(VALU_DEP_1)
	v_bfi_b32 v110, 0x7fffffff, v111, v110
	s_and_not1_b32 vcc_lo, exec_lo, s27
	v_mul_f32_e32 v110, s41, v110
	s_cbranch_vccnz .LBB22_98
; %bb.97:                               ;   in Loop: Header=BB22_14 Depth=1
	v_add_co_u32 v111, vcc_lo, s18, v4
	v_add_co_ci_u32_e32 v112, vcc_lo, s19, v5, vcc_lo
	global_load_u16 v111, v[111:112], off offset:12
	s_waitcnt vmcnt(0)
	v_fma_mix_f32 v110, v16, v111, v110 op_sel_hi:[0,1,0]
.LBB22_98:                              ;   in Loop: Header=BB22_14 Depth=1
	v_add_co_u32 v100, vcc_lo, v100, v67
	v_add_co_ci_u32_e32 v101, vcc_lo, v101, v69, vcc_lo
	s_clause 0x1
	global_load_b128 v[113:116], v[100:101], off
	global_load_b128 v[123:126], v[100:101], off offset:128
	s_waitcnt vmcnt(1)
	v_and_b32_e32 v112, 0xffff0000, v114
	v_and_b32_e32 v101, 0xffff0000, v113
	v_lshlrev_b32_e32 v111, 16, v114
	v_lshlrev_b32_e32 v117, 16, v113
	v_and_b32_e32 v114, 0xffff0000, v115
	v_lshlrev_b32_e32 v113, 16, v115
	v_lshlrev_b32_e32 v115, 16, v116
	v_and_b32_e32 v116, 0xffff0000, v116
	v_fma_f32 v100, v117, v24, 0
	s_waitcnt vmcnt(0)
	v_and_b32_e32 v118, 0xffff0000, v123
	v_and_b32_e32 v120, 0xffff0000, v124
	v_and_b32_e32 v122, 0xffff0000, v125
	v_dual_fmac_f32 v100, v101, v25 :: v_dual_lshlrev_b32 v119, 16, v123
	v_lshlrev_b32_e32 v121, 16, v124
	v_and_b32_e32 v124, 0xffff0000, v126
	v_lshlrev_b32_e32 v123, 16, v125
	v_lshlrev_b32_e32 v125, 16, v126
	v_fmac_f32_e32 v100, v111, v26
	s_delay_alu instid0(VALU_DEP_1) | instskip(NEXT) | instid1(VALU_DEP_1)
	v_fmac_f32_e32 v100, v112, v27
	v_fmac_f32_e32 v100, v113, v28
	s_delay_alu instid0(VALU_DEP_1) | instskip(NEXT) | instid1(VALU_DEP_1)
	v_fmac_f32_e32 v100, v114, v29
	;; [unrolled: 3-line block ×6, first 2 shown]
	v_fmac_f32_e32 v100, v125, v38
	s_delay_alu instid0(VALU_DEP_1)
	v_fmac_f32_e32 v100, v124, v39
	ds_bpermute_b32 v126, v19, v100
	s_waitcnt lgkmcnt(0)
	v_add_f32_e32 v100, v100, v126
	ds_bpermute_b32 v126, v20, v100
	s_waitcnt lgkmcnt(0)
	v_add_f32_e32 v100, v100, v126
	;; [unrolled: 3-line block ×3, first 2 shown]
                                        ; implicit-def: $vgpr126
	s_delay_alu instid0(VALU_DEP_1) | instskip(NEXT) | instid1(VALU_DEP_1)
	v_cmp_ngt_f32_e64 s37, 0x3f200000, |v100|
	s_and_saveexec_b32 s38, s37
	s_delay_alu instid0(SALU_CYCLE_1)
	s_xor_b32 s37, exec_lo, s38
	s_cbranch_execz .LBB22_100
; %bb.99:                               ;   in Loop: Header=BB22_14 Depth=1
	v_add_f32_e64 v126, |v100|, |v100|
	s_delay_alu instid0(VALU_DEP_1) | instskip(SKIP_1) | instid1(VALU_DEP_2)
	v_mul_f32_e32 v127, 0x3fb8aa3b, v126
	v_cmp_ngt_f32_e32 vcc_lo, 0xc2ce8ed0, v126
	v_rndne_f32_e32 v128, v127
	v_fma_f32 v129, 0x3fb8aa3b, v126, -v127
	s_delay_alu instid0(VALU_DEP_2) | instskip(NEXT) | instid1(VALU_DEP_2)
	v_sub_f32_e32 v127, v127, v128
	v_fmac_f32_e32 v129, 0x32a5705f, v126
	v_cvt_i32_f32_e32 v128, v128
	s_delay_alu instid0(VALU_DEP_2) | instskip(NEXT) | instid1(VALU_DEP_1)
	v_add_f32_e32 v127, v127, v129
	v_exp_f32_e32 v127, v127
	s_waitcnt_depctr 0xfff
	v_ldexp_f32 v127, v127, v128
	s_delay_alu instid0(VALU_DEP_1) | instskip(SKIP_1) | instid1(VALU_DEP_2)
	v_cndmask_b32_e32 v127, 0, v127, vcc_lo
	v_cmp_nlt_f32_e32 vcc_lo, 0x42b17218, v126
	v_cndmask_b32_e32 v126, 0x7f800000, v127, vcc_lo
	s_delay_alu instid0(VALU_DEP_1) | instskip(NEXT) | instid1(VALU_DEP_1)
	v_add_f32_e32 v126, 1.0, v126
	v_rcp_f32_e32 v126, v126
	s_waitcnt_depctr 0xfff
	v_fma_f32 v126, v126, -2.0, 1.0
.LBB22_100:                             ;   in Loop: Header=BB22_14 Depth=1
	s_and_not1_saveexec_b32 s37, s37
; %bb.101:                              ;   in Loop: Header=BB22_14 Depth=1
	v_mul_f32_e32 v126, v100, v100
	s_delay_alu instid0(VALU_DEP_1) | instskip(NEXT) | instid1(VALU_DEP_1)
	v_fmaak_f32 v127, s36, v126, 0x3ca908c9
	v_fmaak_f32 v127, v126, v127, 0xbd5c1c4e
	s_delay_alu instid0(VALU_DEP_1) | instskip(NEXT) | instid1(VALU_DEP_1)
	v_fmaak_f32 v127, v126, v127, 0x3e088382
	v_fmaak_f32 v127, v126, v127, 0xbeaaaa99
	s_delay_alu instid0(VALU_DEP_1) | instskip(NEXT) | instid1(VALU_DEP_1)
	v_mul_f32_e64 v127, |v100|, v127
	v_fma_f32 v126, v126, v127, |v100|
; %bb.102:                              ;   in Loop: Header=BB22_14 Depth=1
	s_or_b32 exec_lo, exec_lo, s37
	s_delay_alu instid0(VALU_DEP_1) | instskip(SKIP_1) | instid1(VALU_DEP_1)
	v_bfi_b32 v100, 0x7fffffff, v126, v100
	s_and_not1_b32 vcc_lo, exec_lo, s26
	v_mul_f32_e32 v100, s41, v100
	s_cbranch_vccnz .LBB22_104
; %bb.103:                              ;   in Loop: Header=BB22_14 Depth=1
	global_load_u16 v99, v99, s[18:19] offset:14
	s_waitcnt vmcnt(0)
	v_fma_mix_f32 v100, v16, v99, v100 op_sel_hi:[0,1,0]
.LBB22_104:                             ;   in Loop: Header=BB22_14 Depth=1
	v_fma_f32 v99, v117, v40, 0
	s_delay_alu instid0(VALU_DEP_1) | instskip(NEXT) | instid1(VALU_DEP_1)
	v_fmac_f32_e32 v99, v101, v41
	v_fmac_f32_e32 v99, v111, v42
	s_delay_alu instid0(VALU_DEP_1) | instskip(NEXT) | instid1(VALU_DEP_1)
	v_fmac_f32_e32 v99, v112, v43
	v_fmac_f32_e32 v99, v113, v44
	;; [unrolled: 3-line block ×7, first 2 shown]
	s_delay_alu instid0(VALU_DEP_1)
	v_fmac_f32_e32 v99, v124, v59
	ds_bpermute_b32 v101, v19, v99
	s_waitcnt lgkmcnt(0)
	v_add_f32_e32 v99, v99, v101
	ds_bpermute_b32 v101, v20, v99
	s_waitcnt lgkmcnt(0)
	v_add_f32_e32 v99, v99, v101
	;; [unrolled: 3-line block ×3, first 2 shown]
                                        ; implicit-def: $vgpr101
	s_delay_alu instid0(VALU_DEP_1) | instskip(NEXT) | instid1(VALU_DEP_1)
	v_cmp_ngt_f32_e64 s37, 0x3f200000, |v99|
	s_and_saveexec_b32 s38, s37
	s_delay_alu instid0(SALU_CYCLE_1)
	s_xor_b32 s37, exec_lo, s38
	s_cbranch_execz .LBB22_106
; %bb.105:                              ;   in Loop: Header=BB22_14 Depth=1
	v_add_f32_e64 v101, |v99|, |v99|
	s_delay_alu instid0(VALU_DEP_1) | instskip(SKIP_1) | instid1(VALU_DEP_2)
	v_mul_f32_e32 v111, 0x3fb8aa3b, v101
	v_cmp_ngt_f32_e32 vcc_lo, 0xc2ce8ed0, v101
	v_rndne_f32_e32 v112, v111
	v_fma_f32 v113, 0x3fb8aa3b, v101, -v111
	s_delay_alu instid0(VALU_DEP_2) | instskip(NEXT) | instid1(VALU_DEP_2)
	v_sub_f32_e32 v111, v111, v112
	v_fmac_f32_e32 v113, 0x32a5705f, v101
	v_cvt_i32_f32_e32 v112, v112
	s_delay_alu instid0(VALU_DEP_2) | instskip(NEXT) | instid1(VALU_DEP_1)
	v_add_f32_e32 v111, v111, v113
	v_exp_f32_e32 v111, v111
	s_waitcnt_depctr 0xfff
	v_ldexp_f32 v111, v111, v112
	s_delay_alu instid0(VALU_DEP_1) | instskip(SKIP_1) | instid1(VALU_DEP_2)
	v_cndmask_b32_e32 v111, 0, v111, vcc_lo
	v_cmp_nlt_f32_e32 vcc_lo, 0x42b17218, v101
	v_cndmask_b32_e32 v101, 0x7f800000, v111, vcc_lo
	s_delay_alu instid0(VALU_DEP_1) | instskip(NEXT) | instid1(VALU_DEP_1)
	v_add_f32_e32 v101, 1.0, v101
	v_rcp_f32_e32 v101, v101
	s_waitcnt_depctr 0xfff
	v_fma_f32 v101, v101, -2.0, 1.0
.LBB22_106:                             ;   in Loop: Header=BB22_14 Depth=1
	s_and_not1_saveexec_b32 s37, s37
; %bb.107:                              ;   in Loop: Header=BB22_14 Depth=1
	v_mul_f32_e32 v101, v99, v99
	s_delay_alu instid0(VALU_DEP_1) | instskip(NEXT) | instid1(VALU_DEP_1)
	v_fmaak_f32 v111, s36, v101, 0x3ca908c9
	v_fmaak_f32 v111, v101, v111, 0xbd5c1c4e
	s_delay_alu instid0(VALU_DEP_1) | instskip(NEXT) | instid1(VALU_DEP_1)
	v_fmaak_f32 v111, v101, v111, 0x3e088382
	v_fmaak_f32 v111, v101, v111, 0xbeaaaa99
	s_delay_alu instid0(VALU_DEP_1) | instskip(NEXT) | instid1(VALU_DEP_1)
	v_mul_f32_e64 v111, |v99|, v111
	v_fma_f32 v101, v101, v111, |v99|
; %bb.108:                              ;   in Loop: Header=BB22_14 Depth=1
	s_or_b32 exec_lo, exec_lo, s37
	s_delay_alu instid0(VALU_DEP_1) | instskip(SKIP_1) | instid1(VALU_DEP_1)
	v_bfi_b32 v99, 0x7fffffff, v101, v99
	s_and_not1_b32 vcc_lo, exec_lo, s27
	v_mul_f32_e32 v99, s41, v99
	s_cbranch_vccnz .LBB22_110
; %bb.109:                              ;   in Loop: Header=BB22_14 Depth=1
	v_add_co_u32 v111, vcc_lo, s18, v4
	v_add_co_ci_u32_e32 v112, vcc_lo, s19, v5, vcc_lo
	global_load_u16 v101, v[111:112], off offset:14
	s_waitcnt vmcnt(0)
	v_fma_mix_f32 v99, v16, v101, v99 op_sel_hi:[0,1,0]
.LBB22_110:                             ;   in Loop: Header=BB22_14 Depth=1
	v_add_co_u32 v101, vcc_lo, s11, v70
	v_add_co_ci_u32_e32 v115, vcc_lo, s13, v74, vcc_lo
	scratch_load_b128 v[111:114], off, off
	v_add_co_u32 v123, vcc_lo, v101, v91
	v_add_co_ci_u32_e32 v124, vcc_lo, 0, v115, vcc_lo
	v_add_co_u32 v101, vcc_lo, s11, v75
	v_add_co_ci_u32_e32 v131, vcc_lo, s13, v83, vcc_lo
	scratch_load_b128 v[115:118], off, off offset:16
	s_clause 0x1
	global_load_b128 v[119:122], v[123:124], off
	global_load_b128 v[123:126], v[123:124], off offset:128
	v_add_co_u32 v139, vcc_lo, v101, v91
	v_add_co_ci_u32_e32 v140, vcc_lo, 0, v131, vcc_lo
	v_add_co_u32 v101, vcc_lo, s11, v76
	v_add_co_ci_u32_e32 v143, vcc_lo, s13, v84, vcc_lo
	scratch_load_b128 v[127:130], off, off offset:32
	v_add_co_u32 v147, vcc_lo, v101, v91
	v_add_co_ci_u32_e32 v148, vcc_lo, 0, v143, vcc_lo
	v_add_co_u32 v101, vcc_lo, s11, v77
	v_add_co_ci_u32_e32 v151, vcc_lo, s13, v85, vcc_lo
	scratch_load_b128 v[131:134], off, off offset:48
	s_clause 0x1
	global_load_b128 v[135:138], v[139:140], off
	global_load_b128 v[139:142], v[139:140], off offset:128
	v_add_co_u32 v155, vcc_lo, v101, v91
	v_add_co_ci_u32_e32 v156, vcc_lo, 0, v151, vcc_lo
	v_add_co_u32 v101, vcc_lo, s11, v78
	v_add_co_ci_u32_e32 v159, vcc_lo, s13, v86, vcc_lo
	s_clause 0x1
	global_load_b128 v[143:146], v[147:148], off
	global_load_b128 v[147:150], v[147:148], off offset:128
	v_add_co_u32 v163, vcc_lo, v101, v91
	v_add_co_ci_u32_e32 v164, vcc_lo, 0, v159, vcc_lo
	v_add_co_u32 v101, vcc_lo, s11, v79
	v_add_co_ci_u32_e32 v167, vcc_lo, s13, v87, vcc_lo
	;; [unrolled: 7-line block ×3, first 2 shown]
	s_clause 0x1
	global_load_b128 v[159:162], v[163:164], off
	global_load_b128 v[163:166], v[163:164], off offset:128
	v_add_co_u32 v179, vcc_lo, v101, v91
	v_add_co_ci_u32_e32 v180, vcc_lo, 0, v175, vcc_lo
	v_add_co_u32 v101, vcc_lo, s11, v81
	s_clause 0x1
	global_load_b128 v[167:170], v[171:172], off
	global_load_b128 v[171:174], v[171:172], off offset:128
	v_add_co_ci_u32_e32 v183, vcc_lo, s13, v89, vcc_lo
	v_add_co_u32 v187, vcc_lo, v101, v91
	s_clause 0x1
	global_load_b128 v[175:178], v[179:180], off
	global_load_b128 v[179:182], v[179:180], off offset:128
	v_add_co_ci_u32_e32 v188, vcc_lo, 0, v183, vcc_lo
	s_clause 0x1
	global_load_b128 v[183:186], v[187:188], off
	global_load_b128 v[187:190], v[187:188], off offset:128
	v_dual_add_f32 v101, 0x40051340, v6 :: v_dual_add_f32 v194, 0x40051340, v105
	v_dual_add_f32 v191, 0x40051340, v96 :: v_dual_add_f32 v192, 0x40051340, v98
	;; [unrolled: 1-line block ×4, first 2 shown]
	s_delay_alu instid0(VALU_DEP_3) | instskip(SKIP_2) | instid1(VALU_DEP_4)
	v_max3_f32 v101, v94, v101, v191
	v_add_f32_e32 v197, 0x40051340, v107
	v_add_f32_e32 v191, 0x40051340, v102
	v_max3_f32 v195, v95, v195, v196
	v_add_f32_e32 v196, 0x40051340, v109
	v_max3_f32 v101, v101, v192, v193
	v_dual_add_f32 v192, 0x40051340, v106 :: v_dual_add_f32 v193, 0x40051340, v108
	s_delay_alu instid0(VALU_DEP_4) | instskip(SKIP_1) | instid1(VALU_DEP_4)
	v_max3_f32 v191, v195, v191, v198
	v_add_f32_e32 v195, 0x40051340, v100
	v_max3_f32 v101, v101, v194, v197
	v_dual_add_f32 v194, 0x40051340, v110 :: v_dual_add_f32 v197, 0x40051340, v99
	s_delay_alu instid0(VALU_DEP_4) | instskip(SKIP_1) | instid1(VALU_DEP_4)
	v_max3_f32 v191, v191, v192, v193
	v_cndmask_b32_e64 v6, v92, v6, s2
	v_max3_f32 v101, v101, v196, v195
	v_cndmask_b32_e64 v7, v93, v7, s2
	s_add_i32 s10, s16, s10
	v_max3_f32 v191, v191, v194, v197
	v_cndmask_b32_e64 v6, v6, v96, s3
	ds_bpermute_b32 v192, v71, v101
	v_cndmask_b32_e64 v7, v7, v97, s3
	s_add_u32 s20, s20, s22
	ds_bpermute_b32 v193, v71, v191
	v_cndmask_b32_e64 v6, v6, v98, s4
	s_addc_u32 s21, s21, 0
	v_cndmask_b32_e64 v7, v7, v102, s4
	s_add_u32 s11, s11, s23
	s_addc_u32 s13, s13, 0
	v_cndmask_b32_e64 v6, v6, v103, s5
	s_lshl_b64 s[38:39], s[16:17], 1
	v_cndmask_b32_e64 v7, v7, v104, s5
	s_add_u32 s18, s18, s38
	s_addc_u32 s19, s19, s39
	v_cndmask_b32_e64 v6, v6, v105, s6
	s_cmp_ge_i32 s10, s43
	v_cndmask_b32_e64 v7, v7, v106, s6
	s_delay_alu instid0(VALU_DEP_2) | instskip(SKIP_2) | instid1(VALU_DEP_3)
	v_cndmask_b32_e64 v6, v6, v107, s7
	s_waitcnt lgkmcnt(1)
	v_max_f32_e32 v192, v192, v192
	v_cndmask_b32_e64 v7, v7, v108, s7
	s_waitcnt lgkmcnt(0)
	v_max_f32_e32 v92, v193, v193
	v_cndmask_b32_e64 v98, v6, v109, s8
	v_max_f32_e32 v93, v101, v192
	v_cndmask_b32_e64 v101, v7, v110, s8
	s_delay_alu instid0(VALU_DEP_4) | instskip(SKIP_4) | instid1(VALU_DEP_1)
	v_max_f32_e32 v92, v191, v92
	ds_bpermute_b32 v96, v72, v93
	ds_bpermute_b32 v97, v72, v92
	s_waitcnt lgkmcnt(0)
	v_dual_max_f32 v96, v96, v96 :: v_dual_max_f32 v97, v97, v97
	v_max_f32_e32 v6, v93, v96
	v_cndmask_b32_e64 v93, v98, v100, s9
	s_delay_alu instid0(VALU_DEP_3) | instskip(SKIP_1) | instid1(VALU_DEP_4)
	v_max_f32_e32 v7, v92, v97
	v_cndmask_b32_e64 v92, v101, v99, s9
	v_sub_f32_e32 v94, v94, v6
	s_delay_alu instid0(VALU_DEP_4) | instskip(NEXT) | instid1(VALU_DEP_4)
	v_sub_f32_e32 v93, v93, v6
	v_sub_f32_e32 v95, v95, v7
	s_delay_alu instid0(VALU_DEP_4) | instskip(NEXT) | instid1(VALU_DEP_3)
	v_sub_f32_e32 v96, v92, v7
	v_dual_mul_f32 v92, 0x3fb8aa3b, v94 :: v_dual_mul_f32 v97, 0x3fb8aa3b, v93
	v_cmp_ngt_f32_e32 vcc_lo, 0xc2ce8ed0, v94
	s_delay_alu instid0(VALU_DEP_3) | instskip(NEXT) | instid1(VALU_DEP_3)
	v_dual_mul_f32 v98, 0x3fb8aa3b, v95 :: v_dual_mul_f32 v99, 0x3fb8aa3b, v96
	v_fma_f32 v100, 0x3fb8aa3b, v94, -v92
	v_rndne_f32_e32 v101, v92
	v_rndne_f32_e32 v103, v97
	v_fma_f32 v102, 0x3fb8aa3b, v93, -v97
	v_rndne_f32_e32 v107, v99
	v_fmac_f32_e32 v100, 0x32a5705f, v94
	v_sub_f32_e32 v92, v92, v101
	v_fma_f32 v106, 0x3fb8aa3b, v96, -v99
	v_sub_f32_e32 v97, v97, v103
	v_sub_f32_e32 v99, v99, v107
	v_fma_f32 v104, 0x3fb8aa3b, v95, -v98
	v_add_f32_e32 v92, v92, v100
	v_cvt_i32_f32_e32 v100, v101
	v_rndne_f32_e32 v105, v98
	v_cvt_i32_f32_e32 v101, v103
	v_cvt_i32_f32_e32 v103, v107
	v_exp_f32_e32 v92, v92
	s_waitcnt_depctr 0xfff
	v_ldexp_f32 v92, v92, v100
	s_delay_alu instid0(VALU_DEP_1) | instskip(SKIP_2) | instid1(VALU_DEP_1)
	v_cndmask_b32_e32 v92, 0, v92, vcc_lo
	v_cmp_ngt_f32_e32 vcc_lo, 0xc2ce8ed0, v93
	v_fmac_f32_e32 v106, 0x32a5705f, v96
	v_dual_fmac_f32 v102, 0x32a5705f, v93 :: v_dual_add_f32 v99, v99, v106
	s_delay_alu instid0(VALU_DEP_1) | instskip(SKIP_1) | instid1(VALU_DEP_3)
	v_dual_fmac_f32 v104, 0x32a5705f, v95 :: v_dual_add_f32 v97, v97, v102
	v_cvt_i32_f32_e32 v102, v105
	v_exp_f32_e32 v99, v99
	s_delay_alu instid0(VALU_DEP_2) | instskip(SKIP_4) | instid1(VALU_DEP_1)
	v_exp_f32_e32 v97, v97
	s_waitcnt_depctr 0xfff
	v_ldexp_f32 v99, v99, v103
	v_sub_f32_e32 v98, v98, v105
	v_ldexp_f32 v97, v97, v101
	v_dual_add_f32 v98, v98, v104 :: v_dual_cndmask_b32 v97, 0, v97
	v_cmp_ngt_f32_e32 vcc_lo, 0xc2ce8ed0, v95
	s_delay_alu instid0(VALU_DEP_2) | instskip(SKIP_2) | instid1(VALU_DEP_1)
	v_exp_f32_e32 v98, v98
	s_waitcnt_depctr 0xfff
	v_ldexp_f32 v98, v98, v102
	v_cndmask_b32_e32 v98, 0, v98, vcc_lo
	v_cmp_ngt_f32_e32 vcc_lo, 0xc2ce8ed0, v96
	v_cndmask_b32_e32 v99, 0, v99, vcc_lo
	v_cmp_nlt_f32_e32 vcc_lo, 0x42b17218, v94
	v_cndmask_b32_e32 v94, 0x7f800000, v92, vcc_lo
	v_cmp_nlt_f32_e32 vcc_lo, 0x42b17218, v93
	s_delay_alu instid0(VALU_DEP_2) | instskip(SKIP_2) | instid1(VALU_DEP_2)
	v_cvt_f16_f32_e32 v101, v94
	v_cndmask_b32_e32 v92, 0x7f800000, v97, vcc_lo
	v_cmp_nlt_f32_e32 vcc_lo, 0x42b17218, v96
	v_cvt_f16_f32_e32 v96, v92
	v_cndmask_b32_e32 v93, 0x7f800000, v99, vcc_lo
	v_cmp_nlt_f32_e32 vcc_lo, 0x42b17218, v95
	v_fma_f32 v2, v2, v94, v92
	s_delay_alu instid0(VALU_DEP_3)
	v_cvt_f16_f32_e32 v97, v93
	ds_store_b16 v11, v96
	ds_store_b16 v11, v97 offset:256
	v_cndmask_b32_e32 v95, 0x7f800000, v98, vcc_lo
	ds_load_u16 v103, v73 offset:256
	ds_load_u16 v104, v73
	ds_load_u16 v105, v73 offset:8
	ds_load_u16 v106, v73 offset:16
	;; [unrolled: 1-line block ×14, first 2 shown]
	v_fma_f32 v3, v3, v95, v93
	v_cvt_f16_f32_e32 v102, v95
	s_waitcnt vmcnt(19)
	v_pk_mul_f16 v95, v101, v112 op_sel_hi:[0,1]
	v_pk_mul_f16 v96, v101, v113 op_sel_hi:[0,1]
	v_pk_mul_f16 v97, v101, v114 op_sel_hi:[0,1]
	v_pk_mul_f16 v94, v101, v111 op_sel_hi:[0,1]
	s_waitcnt vmcnt(18)
	v_pk_mul_f16 v99, v101, v116 op_sel_hi:[0,1]
	v_pk_mul_f16 v98, v101, v115 op_sel_hi:[0,1]
	;; [unrolled: 1-line block ×4, first 2 shown]
	s_waitcnt vmcnt(17) lgkmcnt(15)
	v_pk_mul_f16 v112, v119, v103 op_sel_hi:[1,0]
	v_pk_mul_f16 v114, v120, v103 op_sel_hi:[1,0]
	v_pk_mul_f16 v116, v121, v103 op_sel_hi:[1,0]
	v_pk_mul_f16 v118, v122, v103 op_sel_hi:[1,0]
	s_waitcnt lgkmcnt(14)
	v_pk_fma_f16 v113, v120, v104, v95 op_sel_hi:[1,0,1]
	v_pk_fma_f16 v115, v121, v104, v96 op_sel_hi:[1,0,1]
	;; [unrolled: 1-line block ×3, first 2 shown]
	s_waitcnt vmcnt(16)
	v_pk_mul_f16 v120, v123, v103 op_sel_hi:[1,0]
	v_pk_fma_f16 v121, v124, v104, v99 op_sel_hi:[1,0,1]
	v_pk_mul_f16 v122, v124, v103 op_sel_hi:[1,0]
	v_pk_mul_f16 v124, v125, v103 op_sel_hi:[1,0]
	;; [unrolled: 1-line block ×3, first 2 shown]
	v_pk_fma_f16 v111, v119, v104, v94 op_sel_hi:[1,0,1]
	v_pk_fma_f16 v119, v123, v104, v98 op_sel_hi:[1,0,1]
	;; [unrolled: 1-line block ×4, first 2 shown]
	s_waitcnt vmcnt(15)
	v_pk_fma_f16 v112, v102, v127, v112 op_sel_hi:[0,1,1]
	v_pk_fma_f16 v114, v102, v128, v114 op_sel_hi:[0,1,1]
	;; [unrolled: 1-line block ×4, first 2 shown]
	s_waitcnt vmcnt(14)
	v_pk_fma_f16 v120, v102, v131, v120 op_sel_hi:[0,1,1]
	v_pk_fma_f16 v122, v102, v132, v122 op_sel_hi:[0,1,1]
	;; [unrolled: 1-line block ×4, first 2 shown]
	s_waitcnt vmcnt(13) lgkmcnt(13)
	v_pk_fma_f16 v103, v135, v105, v111 op_sel_hi:[1,0,1]
	v_pk_fma_f16 v111, v136, v105, v113 op_sel_hi:[1,0,1]
	;; [unrolled: 1-line block ×4, first 2 shown]
	s_waitcnt vmcnt(12)
	v_pk_fma_f16 v117, v139, v105, v119 op_sel_hi:[1,0,1]
	v_pk_fma_f16 v119, v140, v105, v121 op_sel_hi:[1,0,1]
	;; [unrolled: 1-line block ×4, first 2 shown]
	s_waitcnt lgkmcnt(1)
	v_pk_fma_f16 v105, v135, v197, v112 op_sel_hi:[1,0,1]
	v_pk_fma_f16 v112, v136, v197, v114 op_sel_hi:[1,0,1]
	v_pk_fma_f16 v114, v137, v197, v116 op_sel_hi:[1,0,1]
	v_pk_fma_f16 v116, v138, v197, v118 op_sel_hi:[1,0,1]
	v_pk_fma_f16 v118, v139, v197, v120 op_sel_hi:[1,0,1]
	v_pk_fma_f16 v120, v140, v197, v122 op_sel_hi:[1,0,1]
	v_pk_fma_f16 v122, v141, v197, v124 op_sel_hi:[1,0,1]
	v_pk_fma_f16 v102, v142, v197, v102 op_sel_hi:[1,0,1]
	s_waitcnt vmcnt(11)
	v_pk_fma_f16 v103, v143, v106, v103 op_sel_hi:[1,0,1]
	v_pk_fma_f16 v111, v144, v106, v111 op_sel_hi:[1,0,1]
	v_pk_fma_f16 v113, v145, v106, v113 op_sel_hi:[1,0,1]
	v_pk_fma_f16 v115, v146, v106, v115 op_sel_hi:[1,0,1]
	s_waitcnt vmcnt(10)
	v_pk_fma_f16 v117, v147, v106, v117 op_sel_hi:[1,0,1]
	v_pk_fma_f16 v119, v148, v106, v119 op_sel_hi:[1,0,1]
	v_pk_fma_f16 v121, v149, v106, v121 op_sel_hi:[1,0,1]
	v_pk_fma_f16 v104, v150, v106, v104 op_sel_hi:[1,0,1]
	v_pk_fma_f16 v105, v143, v192, v105 op_sel_hi:[1,0,1]
	v_pk_fma_f16 v106, v144, v192, v112 op_sel_hi:[1,0,1]
	v_pk_fma_f16 v112, v145, v192, v114 op_sel_hi:[1,0,1]
	v_pk_fma_f16 v114, v146, v192, v116 op_sel_hi:[1,0,1]
	v_pk_fma_f16 v116, v147, v192, v118 op_sel_hi:[1,0,1]
	v_pk_fma_f16 v118, v148, v192, v120 op_sel_hi:[1,0,1]
	v_pk_fma_f16 v120, v149, v192, v122 op_sel_hi:[1,0,1]
	v_pk_fma_f16 v102, v150, v192, v102 op_sel_hi:[1,0,1]
	s_waitcnt vmcnt(9)
	v_pk_fma_f16 v103, v151, v107, v103 op_sel_hi:[1,0,1]
	v_pk_fma_f16 v111, v152, v107, v111 op_sel_hi:[1,0,1]
	v_pk_fma_f16 v113, v153, v107, v113 op_sel_hi:[1,0,1]
	v_pk_fma_f16 v115, v154, v107, v115 op_sel_hi:[1,0,1]
	s_waitcnt vmcnt(8)
	v_pk_fma_f16 v117, v155, v107, v117 op_sel_hi:[1,0,1]
	v_pk_fma_f16 v119, v156, v107, v119 op_sel_hi:[1,0,1]
	v_pk_fma_f16 v121, v157, v107, v121 op_sel_hi:[1,0,1]
	v_pk_fma_f16 v104, v158, v107, v104 op_sel_hi:[1,0,1]
	;; [unrolled: 18-line block ×3, first 2 shown]
	s_waitcnt lgkmcnt(0)
	v_pk_fma_f16 v105, v159, v198, v105 op_sel_hi:[1,0,1]
	v_pk_fma_f16 v106, v160, v198, v106 op_sel_hi:[1,0,1]
	v_pk_fma_f16 v107, v161, v198, v107 op_sel_hi:[1,0,1]
	v_pk_fma_f16 v108, v162, v198, v112 op_sel_hi:[1,0,1]
	v_pk_fma_f16 v112, v163, v198, v114 op_sel_hi:[1,0,1]
	v_pk_fma_f16 v114, v164, v198, v116 op_sel_hi:[1,0,1]
	v_pk_fma_f16 v116, v165, v198, v118 op_sel_hi:[1,0,1]
	v_pk_fma_f16 v102, v166, v198, v102 op_sel_hi:[1,0,1]
	s_waitcnt vmcnt(5)
	v_pk_fma_f16 v103, v167, v109, v103 op_sel_hi:[1,0,1]
	v_pk_fma_f16 v111, v168, v109, v111 op_sel_hi:[1,0,1]
	v_pk_fma_f16 v113, v169, v109, v113 op_sel_hi:[1,0,1]
	v_pk_fma_f16 v115, v170, v109, v115 op_sel_hi:[1,0,1]
	s_waitcnt vmcnt(4)
	v_pk_fma_f16 v117, v171, v109, v117 op_sel_hi:[1,0,1]
	v_pk_fma_f16 v118, v172, v109, v119 op_sel_hi:[1,0,1]
	v_pk_fma_f16 v119, v173, v109, v120 op_sel_hi:[1,0,1]
	v_pk_fma_f16 v104, v174, v109, v104 op_sel_hi:[1,0,1]
	v_pk_fma_f16 v105, v167, v194, v105 op_sel_hi:[1,0,1]
	v_pk_fma_f16 v106, v168, v194, v106 op_sel_hi:[1,0,1]
	v_pk_fma_f16 v107, v169, v194, v107 op_sel_hi:[1,0,1]
	v_pk_fma_f16 v108, v170, v194, v108 op_sel_hi:[1,0,1]
	v_pk_fma_f16 v109, v171, v194, v112 op_sel_hi:[1,0,1]
	v_pk_fma_f16 v112, v172, v194, v114 op_sel_hi:[1,0,1]
	v_pk_fma_f16 v114, v173, v194, v116 op_sel_hi:[1,0,1]
	v_pk_fma_f16 v102, v174, v194, v102 op_sel_hi:[1,0,1]
	s_waitcnt vmcnt(3)
	v_pk_fma_f16 v103, v175, v110, v103 op_sel_hi:[1,0,1]
	v_pk_fma_f16 v111, v176, v110, v111 op_sel_hi:[1,0,1]
	v_pk_fma_f16 v113, v177, v110, v113 op_sel_hi:[1,0,1]
	v_pk_fma_f16 v115, v178, v110, v115 op_sel_hi:[1,0,1]
	s_waitcnt vmcnt(2)
	v_pk_fma_f16 v116, v179, v110, v117 op_sel_hi:[1,0,1]
	v_pk_fma_f16 v117, v180, v110, v118 op_sel_hi:[1,0,1]
	v_pk_fma_f16 v118, v181, v110, v119 op_sel_hi:[1,0,1]
	v_pk_fma_f16 v110, v182, v110, v104 op_sel_hi:[1,0,1]
	;; [unrolled: 18-line block ×3, first 2 shown]
	v_pk_fma_f16 v110, v183, v196, v119 op_sel_hi:[1,0,1]
	v_pk_fma_f16 v111, v184, v196, v120 op_sel_hi:[1,0,1]
	;; [unrolled: 1-line block ×8, first 2 shown]
	s_clause 0x5
	scratch_store_b128 off, v[94:97], off
	scratch_store_b128 off, v[98:101], off offset:16
	scratch_store_b128 off, v[102:105], off
	scratch_store_b128 off, v[106:109], off offset:16
	scratch_store_b128 off, v[110:113], off offset:32
	;; [unrolled: 1-line block ×3, first 2 shown]
	s_cbranch_scc1 .LBB22_112
; %bb.111:                              ;   in Loop: Header=BB22_14 Depth=1
	v_dual_mov_b32 v94, v6 :: v_dual_mov_b32 v95, v7
	s_branch .LBB22_14
.LBB22_112:
	s_cmp_lg_u64 s[24:25], 0
	v_cmp_gt_u32_e32 vcc_lo, 2, v12
	s_cselect_b32 s2, -1, 0
	s_cmp_eq_u32 s14, 0
	s_cselect_b32 s3, -1, 0
	s_delay_alu instid0(SALU_CYCLE_1) | instskip(NEXT) | instid1(SALU_CYCLE_1)
	s_and_b32 s2, s3, s2
	s_and_b32 s2, vcc_lo, s2
	s_delay_alu instid0(SALU_CYCLE_1)
	s_and_saveexec_b32 s3, s2
	s_cbranch_execz .LBB22_114
; %bb.113:
	s_clause 0x1
	scratch_load_b128 v[18:21], v17, off
	scratch_load_b128 v[22:25], v17, off offset:16
	s_ashr_i32 s13, s12, 31
	v_cmp_eq_u32_e32 vcc_lo, 1, v12
	s_lshl_b64 s[4:5], s[12:13], 2
	s_delay_alu instid0(SALU_CYCLE_1)
	s_add_u32 s4, s24, s4
	s_addc_u32 s5, s25, s5
	s_load_b32 s2, s[4:5], 0x0
	s_waitcnt lgkmcnt(0)
	v_max_f32_e64 v4, s2, s2
	v_cndmask_b32_e32 v0, v6, v7, vcc_lo
	s_delay_alu instid0(VALU_DEP_1) | instskip(NEXT) | instid1(VALU_DEP_1)
	v_max_f32_e32 v1, v0, v0
	v_max_f32_e32 v1, v4, v1
	s_delay_alu instid0(VALU_DEP_1) | instskip(SKIP_2) | instid1(VALU_DEP_3)
	v_sub_f32_e32 v4, s2, v1
	v_sub_f32_e32 v0, v0, v1
	v_cndmask_b32_e32 v7, v7, v1, vcc_lo
	v_mul_f32_e32 v5, 0x3fb8aa3b, v4
	s_delay_alu instid0(VALU_DEP_1) | instskip(SKIP_1) | instid1(VALU_DEP_1)
	v_fma_f32 v26, 0x3fb8aa3b, v4, -v5
	v_rndne_f32_e32 v27, v5
	v_dual_sub_f32 v5, v5, v27 :: v_dual_fmac_f32 v26, 0x32a5705f, v4
	v_mul_f32_e32 v16, 0x3fb8aa3b, v0
	v_cmp_ngt_f32_e64 s2, 0xc2ce8ed0, v4
	s_delay_alu instid0(VALU_DEP_3) | instskip(NEXT) | instid1(VALU_DEP_3)
	v_add_f32_e32 v5, v5, v26
	v_fma_f32 v28, 0x3fb8aa3b, v0, -v16
	v_rndne_f32_e32 v29, v16
	v_cvt_i32_f32_e32 v26, v27
	s_delay_alu instid0(VALU_DEP_4) | instskip(NEXT) | instid1(VALU_DEP_3)
	v_exp_f32_e32 v5, v5
	v_fmac_f32_e32 v28, 0x32a5705f, v0
	s_delay_alu instid0(VALU_DEP_3) | instskip(SKIP_1) | instid1(VALU_DEP_2)
	v_sub_f32_e32 v16, v16, v29
	v_cvt_i32_f32_e32 v27, v29
	v_add_f32_e32 v16, v16, v28
	s_waitcnt_depctr 0xfff
	v_ldexp_f32 v5, v5, v26
	v_exp_f32_e32 v16, v16
	s_delay_alu instid0(VALU_DEP_1) | instskip(SKIP_3) | instid1(VALU_DEP_1)
	v_cndmask_b32_e64 v5, 0, v5, s2
	v_cmp_ngt_f32_e64 s2, 0xc2ce8ed0, v0
	s_waitcnt_depctr 0xfff
	v_ldexp_f32 v16, v16, v27
	v_cndmask_b32_e64 v16, 0, v16, s2
	v_cmp_nlt_f32_e64 s2, 0x42b17218, v4
	s_delay_alu instid0(VALU_DEP_1) | instskip(SKIP_2) | instid1(VALU_DEP_2)
	v_cndmask_b32_e64 v4, 0x7f800000, v5, s2
	v_cmp_nlt_f32_e64 s2, 0x42b17218, v0
	v_cndmask_b32_e32 v5, v2, v3, vcc_lo
	v_cndmask_b32_e64 v0, 0x7f800000, v16, s2
	v_cmp_eq_u32_e64 s2, 0, v8
	s_delay_alu instid0(VALU_DEP_1) | instskip(SKIP_1) | instid1(VALU_DEP_2)
	v_cndmask_b32_e64 v4, 0, v4, s2
	v_cmp_eq_u32_e64 s2, 0, v12
	v_fmac_f32_e32 v4, v5, v0
	v_cvt_f16_f32_e32 v0, v0
	s_delay_alu instid0(VALU_DEP_3) | instskip(NEXT) | instid1(VALU_DEP_3)
	v_cndmask_b32_e64 v6, v6, v1, s2
	v_cndmask_b32_e32 v3, v3, v4, vcc_lo
	v_cndmask_b32_e64 v2, v2, v4, s2
	s_waitcnt vmcnt(1)
	v_pk_mul_f16 v18, v0, v18 op_sel_hi:[0,1]
	v_pk_mul_f16 v19, v0, v19 op_sel_hi:[0,1]
	;; [unrolled: 1-line block ×4, first 2 shown]
	s_waitcnt vmcnt(0)
	v_pk_mul_f16 v22, v0, v22 op_sel_hi:[0,1]
	v_pk_mul_f16 v23, v0, v23 op_sel_hi:[0,1]
	;; [unrolled: 1-line block ×4, first 2 shown]
	s_clause 0x1
	scratch_store_b128 v17, v[18:21], off
	scratch_store_b128 v17, v[22:25], off offset:16
.LBB22_114:
	s_or_b32 exec_lo, exec_lo, s3
	s_delay_alu instid0(SALU_CYCLE_1)
	s_mov_b32 s2, exec_lo
	v_cmpx_eq_u32_e32 0, v12
	s_cbranch_execz .LBB22_116
; %bb.115:
	v_mov_b32_e32 v0, 0xfeffffff
	v_dual_mov_b32 v4, 0 :: v_dual_add_nc_u32 v1, 0x1000, v9
	ds_store_2addr_b32 v1, v0, v0 offset1:32
	ds_store_2addr_b32 v1, v4, v4 offset0:64 offset1:96
.LBB22_116:
	s_or_b32 exec_lo, exec_lo, s2
	v_cmp_eq_u32_e64 s2, 0, v8
	s_waitcnt lgkmcnt(0)
	s_waitcnt_vscnt null, 0x0
	s_barrier
	buffer_gl0_inv
	s_and_saveexec_b32 s3, s2
	s_cbranch_execz .LBB22_118
; %bb.117:
	v_lshlrev_b32_e32 v0, 2, v12
	s_delay_alu instid0(VALU_DEP_1)
	v_add_nc_u32_e32 v0, 0x1000, v0
	ds_store_2addr_b32 v0, v6, v7 offset1:32
.LBB22_118:
	s_or_b32 exec_lo, exec_lo, s3
	s_delay_alu instid0(SALU_CYCLE_1)
	s_and_not1_b32 vcc_lo, exec_lo, s40
	s_waitcnt lgkmcnt(0)
	s_barrier
	buffer_gl0_inv
	s_cbranch_vccnz .LBB22_120
; %bb.119:
	s_load_b32 s3, s[0:1], 0xd4
	s_cbranch_execz .LBB22_121
	s_branch .LBB22_128
.LBB22_120:
                                        ; implicit-def: $sgpr3
.LBB22_121:
	ds_load_b32 v0, v9 offset:4096
	v_xor_b32_e32 v1, 16, v15
	s_clause 0x1
	scratch_load_b128 v[19:22], off, off
	scratch_load_b128 v[23:26], off, off offset:16
	v_xor_b32_e32 v4, 8, v15
	s_waitcnt lgkmcnt(0)
	s_load_b32 s3, s[0:1], 0xd4
	v_cmp_gt_i32_e32 vcc_lo, 32, v1
	v_cndmask_b32_e32 v1, v15, v1, vcc_lo
	v_cmp_gt_i32_e32 vcc_lo, 32, v4
	s_delay_alu instid0(VALU_DEP_2) | instskip(SKIP_4) | instid1(VALU_DEP_2)
	v_lshlrev_b32_e32 v16, 2, v1
	ds_bpermute_b32 v1, v16, v0
	v_cndmask_b32_e32 v4, v15, v4, vcc_lo
	s_waitcnt lgkmcnt(0)
	v_dual_max_f32 v0, v0, v0 :: v_dual_max_f32 v1, v1, v1
	v_lshlrev_b32_e32 v17, 2, v4
	v_xor_b32_e32 v4, 4, v15
	s_delay_alu instid0(VALU_DEP_3) | instskip(NEXT) | instid1(VALU_DEP_2)
	v_max_f32_e32 v0, v0, v1
	v_cmp_gt_i32_e32 vcc_lo, 32, v4
	ds_bpermute_b32 v1, v17, v0
	s_waitcnt lgkmcnt(0)
	v_dual_cndmask_b32 v4, v15, v4 :: v_dual_max_f32 v1, v1, v1
	s_delay_alu instid0(VALU_DEP_1) | instskip(SKIP_1) | instid1(VALU_DEP_1)
	v_lshlrev_b32_e32 v18, 2, v4
	v_xor_b32_e32 v4, 2, v15
	v_cmp_gt_i32_e32 vcc_lo, 32, v4
	v_cndmask_b32_e32 v4, v15, v4, vcc_lo
	s_delay_alu instid0(VALU_DEP_1) | instskip(SKIP_2) | instid1(VALU_DEP_1)
	v_dual_max_f32 v0, v0, v1 :: v_dual_lshlrev_b32 v5, 2, v4
	ds_bpermute_b32 v1, v18, v0
	v_xor_b32_e32 v4, 1, v15
	v_cmp_gt_i32_e32 vcc_lo, 32, v4
	v_cndmask_b32_e32 v4, v15, v4, vcc_lo
	s_waitcnt lgkmcnt(0)
	s_delay_alu instid0(VALU_DEP_1) | instskip(NEXT) | instid1(VALU_DEP_1)
	v_dual_max_f32 v1, v1, v1 :: v_dual_lshlrev_b32 v4, 2, v4
	v_max_f32_e32 v0, v0, v1
	ds_bpermute_b32 v1, v5, v0
	s_waitcnt lgkmcnt(0)
	v_max_f32_e32 v1, v1, v1
	s_delay_alu instid0(VALU_DEP_1) | instskip(SKIP_3) | instid1(VALU_DEP_1)
	v_max_f32_e32 v0, v0, v1
	ds_bpermute_b32 v1, v4, v0
	s_waitcnt lgkmcnt(0)
	v_max_f32_e32 v1, v1, v1
	v_max_f32_e32 v0, v0, v1
	s_delay_alu instid0(VALU_DEP_1) | instskip(NEXT) | instid1(VALU_DEP_1)
	v_sub_f32_e32 v1, v6, v0
	v_mul_f32_e32 v6, 0x3fb8aa3b, v1
	v_cmp_ngt_f32_e32 vcc_lo, 0xc2ce8ed0, v1
	s_delay_alu instid0(VALU_DEP_2) | instskip(SKIP_1) | instid1(VALU_DEP_1)
	v_fma_f32 v15, 0x3fb8aa3b, v1, -v6
	v_rndne_f32_e32 v27, v6
	v_dual_fmamk_f32 v15, v1, 0x32a5705f, v15 :: v_dual_sub_f32 v6, v6, v27
	s_delay_alu instid0(VALU_DEP_1) | instskip(SKIP_1) | instid1(VALU_DEP_2)
	v_add_f32_e32 v6, v6, v15
	v_cvt_i32_f32_e32 v15, v27
	v_exp_f32_e32 v6, v6
	s_waitcnt_depctr 0xfff
	v_ldexp_f32 v6, v6, v15
	s_delay_alu instid0(VALU_DEP_1) | instskip(NEXT) | instid1(VALU_DEP_1)
	v_dual_cndmask_b32 v6, 0, v6 :: v_dual_lshlrev_b32 v15, 5, v8
	v_and_b32_e32 v15, 0xf00, v15
	v_cmp_nlt_f32_e32 vcc_lo, 0x42b17218, v1
	s_delay_alu instid0(VALU_DEP_2) | instskip(NEXT) | instid1(VALU_DEP_4)
	v_lshl_add_u32 v15, v12, 10, v15
	v_cndmask_b32_e32 v6, 0x7f800000, v6, vcc_lo
	s_delay_alu instid0(VALU_DEP_1)
	v_mul_f32_e32 v1, v2, v6
	ds_bpermute_b32 v1, v16, v1
	s_waitcnt lgkmcnt(0)
	v_fmac_f32_e32 v1, v2, v6
	v_cvt_f16_f32_e32 v6, v6
	ds_bpermute_b32 v2, v17, v1
	s_waitcnt lgkmcnt(0)
	v_add_f32_e32 v1, v1, v2
	ds_bpermute_b32 v2, v18, v1
	s_waitcnt lgkmcnt(0)
	v_add_f32_e32 v1, v1, v2
	ds_bpermute_b32 v2, v5, v1
	s_waitcnt vmcnt(1)
	v_pk_mul_f16 v19, v6, v19 op_sel_hi:[0,1]
	v_pk_mul_f16 v20, v6, v20 op_sel_hi:[0,1]
	;; [unrolled: 1-line block ×4, first 2 shown]
	s_waitcnt vmcnt(0)
	v_pk_mul_f16 v23, v6, v23 op_sel_hi:[0,1]
	v_pk_mul_f16 v24, v6, v24 op_sel_hi:[0,1]
	;; [unrolled: 1-line block ×4, first 2 shown]
	v_lshl_or_b32 v6, v14, 2, v15
	s_clause 0x1
	scratch_store_b128 off, v[19:22], off
	scratch_store_b128 off, v[23:26], off offset:16
	s_waitcnt lgkmcnt(0)
	v_add_f32_e32 v1, v1, v2
	ds_store_b128 v6, v[19:22]
	ds_store_b128 v6, v[23:26] offset:128
	ds_bpermute_b32 v2, v4, v1
	s_and_saveexec_b32 s0, s2
	s_cbranch_execz .LBB22_123
; %bb.122:
	s_waitcnt lgkmcnt(0)
	v_dual_add_f32 v1, v1, v2 :: v_dual_lshlrev_b32 v2, 2, v12
	ds_store_b32 v2, v1 offset:4352
.LBB22_123:
	s_or_b32 exec_lo, exec_lo, s0
	s_waitcnt lgkmcnt(0)
	s_waitcnt_vscnt null, 0x0
	s_barrier
	buffer_gl0_inv
	ds_load_b32 v1, v9 offset:4352
	ds_load_u16 v2, v11
	ds_load_u16 v14, v11 offset:256
	ds_load_u16 v15, v11 offset:512
	;; [unrolled: 1-line block ×6, first 2 shown]
	s_cmp_eq_u32 s3, 1
	s_mul_i32 s1, s33, s34
	s_cselect_b32 s0, -1, 0
	s_add_i32 s1, s1, s15
	s_delay_alu instid0(SALU_CYCLE_1) | instskip(NEXT) | instid1(SALU_CYCLE_1)
	s_mul_i32 s4, s1, s35
	s_add_i32 s4, s4, s12
	s_delay_alu instid0(SALU_CYCLE_1) | instskip(NEXT) | instid1(SALU_CYCLE_1)
	s_mul_i32 s1, s3, s4
	s_add_i32 s1, s1, s14
	s_waitcnt lgkmcnt(7)
	ds_bpermute_b32 v23, v16, v1
	s_waitcnt lgkmcnt(7)
	v_cvt_f32_f16_e32 v2, v2
	s_waitcnt lgkmcnt(6)
	v_cvt_f32_f16_e32 v14, v14
	s_waitcnt lgkmcnt(5)
	v_cvt_f32_f16_e32 v15, v15
	s_waitcnt lgkmcnt(4)
	v_cvt_f32_f16_e32 v19, v19
	s_waitcnt lgkmcnt(3)
	v_cvt_f32_f16_e32 v20, v20
	s_waitcnt lgkmcnt(2)
	v_cvt_f32_f16_e32 v21, v21
	s_waitcnt lgkmcnt(1)
	v_cvt_f32_f16_e32 v22, v22
	v_add_f32_e32 v2, 0, v2
	s_waitcnt lgkmcnt(0)
	s_delay_alu instid0(VALU_DEP_1)
	v_dual_add_f32 v2, v2, v14 :: v_dual_add_f32 v1, v1, v23
	ds_bpermute_b32 v23, v17, v1
	s_waitcnt lgkmcnt(0)
	v_add_f32_e32 v1, v1, v23
	ds_bpermute_b32 v14, v18, v1
	v_add_f32_e32 v2, v2, v15
	ds_load_u16 v15, v11 offset:1792
	s_waitcnt lgkmcnt(1)
	v_dual_add_f32 v1, v1, v14 :: v_dual_add_f32 v2, v2, v19
	ds_load_u16 v19, v11 offset:2048
	v_add_f32_e32 v2, v2, v20
	ds_load_u16 v20, v11 offset:2304
	s_waitcnt lgkmcnt(2)
	v_cvt_f32_f16_e32 v15, v15
	v_add_f32_e32 v2, v2, v21
	ds_load_u16 v14, v11 offset:2560
	ds_load_u16 v21, v11 offset:2816
	;; [unrolled: 1-line block ×5, first 2 shown]
	v_add_f32_e32 v2, v2, v22
	ds_bpermute_b32 v22, v5, v1
	v_add_f32_e32 v2, v2, v15
	s_waitcnt lgkmcnt(7)
	v_cvt_f32_f16_e32 v19, v19
	s_waitcnt lgkmcnt(6)
	v_cvt_f32_f16_e32 v15, v20
	s_delay_alu instid0(VALU_DEP_2)
	v_add_f32_e32 v2, v2, v19
	s_waitcnt lgkmcnt(5)
	v_cvt_f32_f16_e32 v14, v14
	s_waitcnt lgkmcnt(4)
	v_cvt_f32_f16_e32 v19, v21
	;; [unrolled: 2-line block ×3, first 2 shown]
	v_add_f32_e32 v2, v2, v15
	ds_load_u16 v15, v11 offset:3840
	s_waitcnt lgkmcnt(1)
	v_add_f32_e32 v1, v1, v22
	v_add_f32_e32 v2, v2, v14
	v_cvt_f32_f16_e32 v14, v23
	s_delay_alu instid0(VALU_DEP_2) | instskip(SKIP_3) | instid1(VALU_DEP_2)
	v_add_f32_e32 v2, v2, v19
	ds_bpermute_b32 v19, v4, v1
	v_add_f32_e32 v2, v2, v14
	v_cvt_f32_f16_e32 v14, v25
	v_add_f32_e32 v2, v2, v20
	s_waitcnt lgkmcnt(1)
	v_cvt_f32_f16_e32 v15, v15
	s_delay_alu instid0(VALU_DEP_2) | instskip(NEXT) | instid1(VALU_DEP_1)
	v_add_f32_e32 v2, v2, v14
	v_add_f32_e32 v20, v2, v15
	s_waitcnt lgkmcnt(0)
	v_add_f32_e32 v2, v1, v19
	s_delay_alu instid0(VALU_DEP_1) | instskip(SKIP_1) | instid1(VALU_DEP_2)
	v_div_scale_f32 v1, null, v2, v2, v20
	v_div_scale_f32 v19, vcc_lo, v20, v2, v20
	v_rcp_f32_e32 v14, v1
	s_waitcnt_depctr 0xfff
	v_fma_f32 v15, -v1, v14, 1.0
	s_delay_alu instid0(VALU_DEP_1) | instskip(NEXT) | instid1(VALU_DEP_1)
	v_fmac_f32_e32 v14, v15, v14
	v_mul_f32_e32 v15, v19, v14
	s_delay_alu instid0(VALU_DEP_1) | instskip(NEXT) | instid1(VALU_DEP_1)
	v_fma_f32 v21, -v1, v15, v19
	v_fmac_f32_e32 v15, v21, v14
	s_delay_alu instid0(VALU_DEP_1) | instskip(NEXT) | instid1(VALU_DEP_1)
	v_fma_f32 v1, -v1, v15, v19
	v_div_fmas_f32 v1, v1, v14, v15
	v_mov_b32_e32 v15, 0
	v_lshl_or_b32 v14, s1, 7, v10
	v_cmp_ne_u32_e32 vcc_lo, 1, v13
	s_delay_alu instid0(VALU_DEP_4) | instskip(NEXT) | instid1(VALU_DEP_3)
	v_div_fixup_f32 v1, v1, v2, v20
	v_lshlrev_b64 v[14:15], 2, v[14:15]
	s_and_b32 vcc_lo, exec_lo, vcc_lo
	s_delay_alu instid0(VALU_DEP_2) | instskip(SKIP_1) | instid1(VALU_DEP_3)
	v_cndmask_b32_e64 v19, v20, v1, s0
	v_mov_b32_e32 v1, v7
	v_add_co_u32 v13, s1, s28, v14
	s_delay_alu instid0(VALU_DEP_1)
	v_add_co_ci_u32_e64 v14, s1, s29, v15, s1
	global_store_b32 v[13:14], v19, off
	s_waitcnt_vscnt null, 0x0
	s_barrier
	buffer_gl0_inv
	s_cbranch_vccnz .LBB22_127
; %bb.124:
	v_or_b32_e32 v1, 0x1000, v9
	ds_load_b32 v1, v1 offset:128
	s_clause 0x1
	scratch_load_b128 v[19:22], off, off offset:32
	scratch_load_b128 v[23:26], off, off offset:48
	s_waitcnt lgkmcnt(0)
	ds_bpermute_b32 v13, v16, v1
	v_max_f32_e32 v1, v1, v1
	s_waitcnt lgkmcnt(0)
	v_max_f32_e32 v13, v13, v13
	s_delay_alu instid0(VALU_DEP_1) | instskip(SKIP_3) | instid1(VALU_DEP_1)
	v_max_f32_e32 v1, v1, v13
	ds_bpermute_b32 v13, v17, v1
	s_waitcnt lgkmcnt(0)
	v_max_f32_e32 v13, v13, v13
	v_max_f32_e32 v1, v1, v13
	ds_bpermute_b32 v13, v18, v1
	s_waitcnt lgkmcnt(0)
	v_max_f32_e32 v13, v13, v13
	s_delay_alu instid0(VALU_DEP_1) | instskip(SKIP_3) | instid1(VALU_DEP_1)
	v_max_f32_e32 v1, v1, v13
	ds_bpermute_b32 v13, v5, v1
	s_waitcnt lgkmcnt(0)
	v_max_f32_e32 v13, v13, v13
	v_max_f32_e32 v1, v1, v13
	ds_bpermute_b32 v13, v4, v1
	s_waitcnt lgkmcnt(0)
	v_max_f32_e32 v13, v13, v13
	s_delay_alu instid0(VALU_DEP_1) | instskip(NEXT) | instid1(VALU_DEP_1)
	v_max_f32_e32 v1, v1, v13
	v_sub_f32_e32 v7, v7, v1
	s_delay_alu instid0(VALU_DEP_1) | instskip(SKIP_1) | instid1(VALU_DEP_2)
	v_mul_f32_e32 v13, 0x3fb8aa3b, v7
	v_cmp_ngt_f32_e32 vcc_lo, 0xc2ce8ed0, v7
	v_fma_f32 v14, 0x3fb8aa3b, v7, -v13
	v_rndne_f32_e32 v15, v13
	s_delay_alu instid0(VALU_DEP_1) | instskip(NEXT) | instid1(VALU_DEP_1)
	v_dual_fmamk_f32 v14, v7, 0x32a5705f, v14 :: v_dual_sub_f32 v13, v13, v15
	v_add_f32_e32 v13, v13, v14
	v_cvt_i32_f32_e32 v14, v15
	s_delay_alu instid0(VALU_DEP_2) | instskip(SKIP_3) | instid1(VALU_DEP_2)
	v_exp_f32_e32 v13, v13
	s_waitcnt_depctr 0xfff
	v_ldexp_f32 v13, v13, v14
	v_or_b32_e32 v14, 0x80, v6
	v_cndmask_b32_e32 v13, 0, v13, vcc_lo
	v_cmp_nlt_f32_e32 vcc_lo, 0x42b17218, v7
	s_delay_alu instid0(VALU_DEP_2) | instskip(NEXT) | instid1(VALU_DEP_1)
	v_cndmask_b32_e32 v13, 0x7f800000, v13, vcc_lo
	v_mul_f32_e32 v7, v3, v13
	ds_bpermute_b32 v7, v16, v7
	s_waitcnt lgkmcnt(0)
	v_fmac_f32_e32 v7, v3, v13
	ds_bpermute_b32 v3, v17, v7
	s_waitcnt lgkmcnt(0)
	v_add_f32_e32 v3, v7, v3
	ds_bpermute_b32 v7, v18, v3
	s_waitcnt lgkmcnt(0)
	v_add_f32_e32 v3, v3, v7
	;; [unrolled: 3-line block ×3, first 2 shown]
	v_cvt_f16_f32_e32 v3, v13
	ds_bpermute_b32 v13, v4, v7
	s_waitcnt vmcnt(1)
	v_pk_mul_f16 v19, v3, v19 op_sel_hi:[0,1]
	v_pk_mul_f16 v20, v3, v20 op_sel_hi:[0,1]
	;; [unrolled: 1-line block ×4, first 2 shown]
	s_waitcnt vmcnt(0)
	v_pk_mul_f16 v23, v3, v23 op_sel_hi:[0,1]
	v_pk_mul_f16 v24, v3, v24 op_sel_hi:[0,1]
	;; [unrolled: 1-line block ×4, first 2 shown]
	v_add_nc_u32_e32 v3, 0x1100, v9
	s_clause 0x1
	scratch_store_b128 off, v[19:22], off offset:32
	scratch_store_b128 off, v[23:26], off offset:48
	ds_store_b128 v6, v[19:22]
	ds_store_b128 v14, v[23:26]
	s_and_saveexec_b32 s1, s2
	s_cbranch_execz .LBB22_126
; %bb.125:
	s_waitcnt lgkmcnt(2)
	v_dual_add_f32 v7, v7, v13 :: v_dual_lshlrev_b32 v6, 2, v12
	ds_store_b32 v6, v7 offset:4480
.LBB22_126:
	s_or_b32 exec_lo, exec_lo, s1
	s_waitcnt lgkmcnt(0)
	s_waitcnt_vscnt null, 0x0
	s_barrier
	buffer_gl0_inv
	ds_load_b32 v3, v3 offset:128
	ds_load_u16 v6, v11
	ds_load_u16 v7, v11 offset:256
	ds_load_u16 v9, v11 offset:512
	;; [unrolled: 1-line block ×6, first 2 shown]
	s_add_i32 s4, s4, s35
	s_delay_alu instid0(SALU_CYCLE_1) | instskip(NEXT) | instid1(SALU_CYCLE_1)
	s_mul_i32 s1, s3, s4
	s_add_i32 s1, s1, s14
	s_waitcnt lgkmcnt(7)
	ds_bpermute_b32 v16, v16, v3
	s_waitcnt lgkmcnt(7)
	v_cvt_f32_f16_e32 v6, v6
	s_waitcnt lgkmcnt(6)
	v_cvt_f32_f16_e32 v7, v7
	;; [unrolled: 2-line block ×7, first 2 shown]
	v_add_f32_e32 v6, 0, v6
	s_waitcnt lgkmcnt(0)
	s_delay_alu instid0(VALU_DEP_1)
	v_dual_add_f32 v6, v6, v7 :: v_dual_add_f32 v3, v3, v16
	ds_bpermute_b32 v16, v17, v3
	s_waitcnt lgkmcnt(0)
	v_add_f32_e32 v3, v3, v16
	ds_bpermute_b32 v7, v18, v3
	v_add_f32_e32 v6, v6, v9
	ds_load_u16 v9, v11 offset:1792
	s_waitcnt lgkmcnt(1)
	v_add_f32_e32 v3, v3, v7
	ds_bpermute_b32 v5, v5, v3
	v_add_f32_e32 v6, v6, v12
	ds_load_u16 v12, v11 offset:2048
	s_waitcnt lgkmcnt(1)
	v_add_f32_e32 v3, v3, v5
	v_add_f32_e32 v6, v6, v13
	ds_load_u16 v13, v11 offset:2304
	v_cvt_f32_f16_e32 v9, v9
	s_waitcnt lgkmcnt(1)
	v_cvt_f32_f16_e32 v12, v12
	ds_bpermute_b32 v4, v4, v3
	v_add_f32_e32 v6, v6, v14
	ds_load_u16 v7, v11 offset:2560
	ds_load_u16 v14, v11 offset:2816
	;; [unrolled: 1-line block ×5, first 2 shown]
	s_waitcnt lgkmcnt(4)
	v_cvt_f32_f16_e32 v7, v7
	v_dual_add_f32 v3, v3, v4 :: v_dual_add_f32 v6, v6, v15
	s_waitcnt lgkmcnt(2)
	v_cvt_f32_f16_e32 v5, v16
	s_delay_alu instid0(VALU_DEP_2) | instskip(SKIP_1) | instid1(VALU_DEP_2)
	v_add_f32_e32 v6, v6, v9
	v_cvt_f32_f16_e32 v9, v13
	v_add_f32_e32 v6, v6, v12
	s_delay_alu instid0(VALU_DEP_1)
	v_add_f32_e32 v6, v6, v9
	ds_load_u16 v9, v11 offset:3840
	v_cvt_f32_f16_e32 v11, v14
	v_add_f32_e32 v6, v6, v7
	s_waitcnt lgkmcnt(2)
	v_cvt_f32_f16_e32 v7, v17
	s_delay_alu instid0(VALU_DEP_2) | instskip(NEXT) | instid1(VALU_DEP_1)
	v_add_f32_e32 v6, v6, v11
	v_add_f32_e32 v5, v6, v5
	s_waitcnt lgkmcnt(1)
	v_cvt_f32_f16_e32 v6, v18
	s_delay_alu instid0(VALU_DEP_2) | instskip(SKIP_2) | instid1(VALU_DEP_2)
	v_add_f32_e32 v5, v5, v7
	s_waitcnt lgkmcnt(0)
	v_cvt_f32_f16_e32 v7, v9
	v_add_f32_e32 v5, v5, v6
	s_delay_alu instid0(VALU_DEP_1) | instskip(NEXT) | instid1(VALU_DEP_1)
	v_add_f32_e32 v6, v5, v7
	v_div_scale_f32 v5, null, v3, v3, v6
	v_div_scale_f32 v9, vcc_lo, v6, v3, v6
	s_delay_alu instid0(VALU_DEP_2) | instskip(SKIP_2) | instid1(VALU_DEP_1)
	v_rcp_f32_e32 v7, v5
	s_waitcnt_depctr 0xfff
	v_fma_f32 v4, -v5, v7, 1.0
	v_fmac_f32_e32 v7, v4, v7
	s_delay_alu instid0(VALU_DEP_1) | instskip(NEXT) | instid1(VALU_DEP_1)
	v_mul_f32_e32 v11, v9, v7
	v_fma_f32 v4, -v5, v11, v9
	s_delay_alu instid0(VALU_DEP_1) | instskip(SKIP_1) | instid1(VALU_DEP_2)
	v_fmac_f32_e32 v11, v4, v7
	v_lshl_or_b32 v4, s1, 7, v10
	v_fma_f32 v9, -v5, v11, v9
	v_mov_b32_e32 v5, 0
	s_delay_alu instid0(VALU_DEP_2) | instskip(NEXT) | instid1(VALU_DEP_2)
	v_div_fmas_f32 v7, v9, v7, v11
	v_lshlrev_b64 v[4:5], 2, v[4:5]
	s_delay_alu instid0(VALU_DEP_2) | instskip(NEXT) | instid1(VALU_DEP_2)
	v_div_fixup_f32 v7, v7, v3, v6
	v_add_co_u32 v4, vcc_lo, s28, v4
	s_delay_alu instid0(VALU_DEP_3) | instskip(NEXT) | instid1(VALU_DEP_3)
	v_add_co_ci_u32_e32 v5, vcc_lo, s29, v5, vcc_lo
	v_cndmask_b32_e64 v6, v6, v7, s0
	global_store_b32 v[4:5], v6, off
.LBB22_127:
	v_dual_mov_b32 v7, v1 :: v_dual_mov_b32 v6, v0
.LBB22_128:
	v_or_b32_e32 v0, s15, v8
	v_cmp_gt_u32_e32 vcc_lo, 2, v10
	s_waitcnt lgkmcnt(0)
	s_cmp_lg_u32 s3, 1
	s_cselect_b32 s1, -1, 0
	v_cmp_gt_i32_e64 s0, s34, v0
	s_and_b32 s1, vcc_lo, s1
	s_delay_alu instid0(VALU_DEP_1) | instid1(SALU_CYCLE_1)
	s_and_b32 s0, s1, s0
	s_delay_alu instid0(SALU_CYCLE_1)
	s_and_saveexec_b32 s1, s0
	s_cbranch_execz .LBB22_130
; %bb.129:
	v_mad_u64_u32 v[4:5], null, s33, s34, v[0:1]
	v_cmp_eq_u32_e32 vcc_lo, 1, v10
	s_delay_alu instid0(VALU_DEP_2) | instskip(NEXT) | instid1(VALU_DEP_1)
	v_mad_u64_u32 v[0:1], null, v4, s35, s[12:13]
	v_mad_u64_u32 v[4:5], null, s3, v0, s[14:15]
	v_mov_b32_e32 v5, 0
	s_delay_alu instid0(VALU_DEP_1) | instskip(SKIP_2) | instid1(VALU_DEP_3)
	v_lshlrev_b64 v[0:1], 3, v[4:5]
	v_cndmask_b32_e32 v4, v6, v7, vcc_lo
	v_cndmask_b32_e32 v5, v2, v3, vcc_lo
	v_add_co_u32 v0, vcc_lo, s30, v0
	s_delay_alu instid0(VALU_DEP_4)
	v_add_co_ci_u32_e32 v1, vcc_lo, s31, v1, vcc_lo
	global_store_b64 v[0:1], v[4:5], off
.LBB22_130:
	s_nop 0
	s_sendmsg sendmsg(MSG_DEALLOC_VGPRS)
	s_endpgm
	.section	.rodata,"a",@progbits
	.p2align	6, 0x0
	.amdhsa_kernel _ZL18flash_attn_ext_vecILi128ELi2EL9ggml_type30ELS0_1ELb1EEvPKcS2_S2_S2_S2_PKiPfP15HIP_vector_typeIfLj2EEffffjfiS6_IjLj3EEiiiiiiiiiiiliiliiiiil
		.amdhsa_group_segment_fixed_size 4608
		.amdhsa_private_segment_fixed_size 80
		.amdhsa_kernarg_size 464
		.amdhsa_user_sgpr_count 13
		.amdhsa_user_sgpr_dispatch_ptr 0
		.amdhsa_user_sgpr_queue_ptr 0
		.amdhsa_user_sgpr_kernarg_segment_ptr 1
		.amdhsa_user_sgpr_dispatch_id 0
		.amdhsa_user_sgpr_private_segment_size 0
		.amdhsa_wavefront_size32 1
		.amdhsa_uses_dynamic_stack 0
		.amdhsa_enable_private_segment 1
		.amdhsa_system_sgpr_workgroup_id_x 1
		.amdhsa_system_sgpr_workgroup_id_y 1
		.amdhsa_system_sgpr_workgroup_id_z 1
		.amdhsa_system_sgpr_workgroup_info 0
		.amdhsa_system_vgpr_workitem_id 1
		.amdhsa_next_free_vgpr 199
		.amdhsa_next_free_sgpr 52
		.amdhsa_reserve_vcc 1
		.amdhsa_float_round_mode_32 0
		.amdhsa_float_round_mode_16_64 0
		.amdhsa_float_denorm_mode_32 3
		.amdhsa_float_denorm_mode_16_64 3
		.amdhsa_dx10_clamp 1
		.amdhsa_ieee_mode 1
		.amdhsa_fp16_overflow 0
		.amdhsa_workgroup_processor_mode 1
		.amdhsa_memory_ordered 1
		.amdhsa_forward_progress 0
		.amdhsa_shared_vgpr_count 0
		.amdhsa_exception_fp_ieee_invalid_op 0
		.amdhsa_exception_fp_denorm_src 0
		.amdhsa_exception_fp_ieee_div_zero 0
		.amdhsa_exception_fp_ieee_overflow 0
		.amdhsa_exception_fp_ieee_underflow 0
		.amdhsa_exception_fp_ieee_inexact 0
		.amdhsa_exception_int_div_zero 0
	.end_amdhsa_kernel
	.section	.text._ZL18flash_attn_ext_vecILi128ELi2EL9ggml_type30ELS0_1ELb1EEvPKcS2_S2_S2_S2_PKiPfP15HIP_vector_typeIfLj2EEffffjfiS6_IjLj3EEiiiiiiiiiiiliiliiiiil,"axG",@progbits,_ZL18flash_attn_ext_vecILi128ELi2EL9ggml_type30ELS0_1ELb1EEvPKcS2_S2_S2_S2_PKiPfP15HIP_vector_typeIfLj2EEffffjfiS6_IjLj3EEiiiiiiiiiiiliiliiiiil,comdat
.Lfunc_end22:
	.size	_ZL18flash_attn_ext_vecILi128ELi2EL9ggml_type30ELS0_1ELb1EEvPKcS2_S2_S2_S2_PKiPfP15HIP_vector_typeIfLj2EEffffjfiS6_IjLj3EEiiiiiiiiiiiliiliiiiil, .Lfunc_end22-_ZL18flash_attn_ext_vecILi128ELi2EL9ggml_type30ELS0_1ELb1EEvPKcS2_S2_S2_S2_PKiPfP15HIP_vector_typeIfLj2EEffffjfiS6_IjLj3EEiiiiiiiiiiiliiliiiiil
                                        ; -- End function
	.section	.AMDGPU.csdata,"",@progbits
; Kernel info:
; codeLenInByte = 17844
; NumSgprs: 54
; NumVgprs: 199
; ScratchSize: 80
; MemoryBound: 0
; FloatMode: 240
; IeeeMode: 1
; LDSByteSize: 4608 bytes/workgroup (compile time only)
; SGPRBlocks: 6
; VGPRBlocks: 24
; NumSGPRsForWavesPerEU: 54
; NumVGPRsForWavesPerEU: 199
; Occupancy: 7
; WaveLimiterHint : 1
; COMPUTE_PGM_RSRC2:SCRATCH_EN: 1
; COMPUTE_PGM_RSRC2:USER_SGPR: 13
; COMPUTE_PGM_RSRC2:TRAP_HANDLER: 0
; COMPUTE_PGM_RSRC2:TGID_X_EN: 1
; COMPUTE_PGM_RSRC2:TGID_Y_EN: 1
; COMPUTE_PGM_RSRC2:TGID_Z_EN: 1
; COMPUTE_PGM_RSRC2:TIDIG_COMP_CNT: 1
	.section	.text._ZL18flash_attn_ext_vecILi256ELi1EL9ggml_type30ELS0_1ELb0EEvPKcS2_S2_S2_S2_PKiPfP15HIP_vector_typeIfLj2EEffffjfiS6_IjLj3EEiiiiiiiiiiiliiliiiiil,"axG",@progbits,_ZL18flash_attn_ext_vecILi256ELi1EL9ggml_type30ELS0_1ELb0EEvPKcS2_S2_S2_S2_PKiPfP15HIP_vector_typeIfLj2EEffffjfiS6_IjLj3EEiiiiiiiiiiiliiliiiiil,comdat
	.globl	_ZL18flash_attn_ext_vecILi256ELi1EL9ggml_type30ELS0_1ELb0EEvPKcS2_S2_S2_S2_PKiPfP15HIP_vector_typeIfLj2EEffffjfiS6_IjLj3EEiiiiiiiiiiiliiliiiiil ; -- Begin function _ZL18flash_attn_ext_vecILi256ELi1EL9ggml_type30ELS0_1ELb0EEvPKcS2_S2_S2_S2_PKiPfP15HIP_vector_typeIfLj2EEffffjfiS6_IjLj3EEiiiiiiiiiiiliiliiiiil
	.p2align	8
	.type	_ZL18flash_attn_ext_vecILi256ELi1EL9ggml_type30ELS0_1ELb0EEvPKcS2_S2_S2_S2_PKiPfP15HIP_vector_typeIfLj2EEffffjfiS6_IjLj3EEiiiiiiiiiiiliiliiiiil,@function
_ZL18flash_attn_ext_vecILi256ELi1EL9ggml_type30ELS0_1ELb0EEvPKcS2_S2_S2_S2_PKiPfP15HIP_vector_typeIfLj2EEffffjfiS6_IjLj3EEiiiiiiiiiiiliiliiiiil: ; @_ZL18flash_attn_ext_vecILi256ELi1EL9ggml_type30ELS0_1ELb0EEvPKcS2_S2_S2_S2_PKiPfP15HIP_vector_typeIfLj2EEffffjfiS6_IjLj3EEiiiiiiiiiiiliiliiiiil
; %bb.0:
	s_clause 0x2
	s_load_b64 s[34:35], s[0:1], 0x64
	s_load_b64 s[38:39], s[0:1], 0x80
	;; [unrolled: 1-line block ×3, first 2 shown]
	v_mov_b32_e32 v39, 1.0
	s_waitcnt lgkmcnt(0)
	v_cvt_f32_u32_e32 v1, s35
	s_sub_i32 s3, 0, s35
	s_delay_alu instid0(VALU_DEP_1) | instskip(SKIP_2) | instid1(VALU_DEP_1)
	v_rcp_iflag_f32_e32 v1, v1
	s_waitcnt_depctr 0xfff
	v_mul_f32_e32 v1, 0x4f7ffffe, v1
	v_cvt_u32_f32_e32 v1, v1
	s_delay_alu instid0(VALU_DEP_1) | instskip(NEXT) | instid1(VALU_DEP_1)
	v_readfirstlane_b32 s2, v1
	s_mul_i32 s3, s3, s2
	s_delay_alu instid0(SALU_CYCLE_1) | instskip(NEXT) | instid1(SALU_CYCLE_1)
	s_mul_hi_u32 s3, s2, s3
	s_add_i32 s2, s2, s3
	s_delay_alu instid0(SALU_CYCLE_1) | instskip(NEXT) | instid1(SALU_CYCLE_1)
	s_mul_hi_u32 s2, s15, s2
	s_mul_i32 s3, s2, s35
	s_add_i32 s6, s2, 1
	s_sub_i32 s3, s15, s3
	s_delay_alu instid0(SALU_CYCLE_1)
	s_sub_i32 s7, s3, s35
	s_cmp_ge_u32 s3, s35
	s_cselect_b32 s2, s6, s2
	s_cselect_b32 s3, s7, s3
	s_add_i32 s6, s2, 1
	s_cmp_ge_u32 s3, s35
	s_cselect_b32 s12, s6, s2
	s_abs_i32 s2, s39
	s_abs_i32 s8, s35
	v_cvt_f32_u32_e32 v1, s2
	s_sub_i32 s6, 0, s2
	s_xor_b32 s7, s35, s39
	s_delay_alu instid0(SALU_CYCLE_1) | instskip(NEXT) | instid1(VALU_DEP_1)
	s_ashr_i32 s7, s7, 31
	v_rcp_iflag_f32_e32 v1, v1
	s_waitcnt_depctr 0xfff
	v_mul_f32_e32 v1, 0x4f7ffffe, v1
	s_delay_alu instid0(VALU_DEP_1) | instskip(NEXT) | instid1(VALU_DEP_1)
	v_cvt_u32_f32_e32 v1, v1
	v_readfirstlane_b32 s3, v1
	s_delay_alu instid0(VALU_DEP_1) | instskip(NEXT) | instid1(SALU_CYCLE_1)
	s_mul_i32 s6, s6, s3
	s_mul_hi_u32 s6, s3, s6
	s_delay_alu instid0(SALU_CYCLE_1) | instskip(SKIP_4) | instid1(SALU_CYCLE_1)
	s_add_i32 s3, s3, s6
	s_mul_i32 s6, s12, s35
	s_mul_hi_u32 s3, s8, s3
	s_sub_i32 s36, s15, s6
	s_mul_i32 s9, s3, s2
	s_sub_i32 s6, s8, s9
	s_add_i32 s8, s3, 1
	s_sub_i32 s9, s6, s2
	s_cmp_ge_u32 s6, s2
	s_cselect_b32 s3, s8, s3
	s_cselect_b32 s6, s9, s6
	s_add_i32 s8, s3, 1
	s_cmp_ge_u32 s6, s2
	s_cselect_b32 s2, s8, s3
	s_abs_i32 s15, s4
	s_xor_b32 s2, s2, s7
	v_cvt_f32_u32_e32 v1, s15
	s_sub_i32 s6, s2, s7
	s_clause 0x1
	s_load_b128 s[8:11], s[0:1], 0x40
	s_load_b32 s2, s[0:1], 0x50
	s_abs_i32 s33, s6
	v_rcp_iflag_f32_e32 v1, v1
	v_cvt_f32_u32_e32 v2, s33
	s_delay_alu instid0(VALU_DEP_1) | instskip(SKIP_2) | instid1(VALU_DEP_1)
	v_rcp_iflag_f32_e32 v2, v2
	s_waitcnt_depctr 0xfff
	v_mul_f32_e32 v1, 0x4f7ffffe, v1
	v_cvt_u32_f32_e32 v1, v1
	v_mul_f32_e32 v2, 0x4f7ffffe, v2
	s_waitcnt lgkmcnt(0)
	v_cmp_le_f32_e64 s3, s9, 0
	s_delay_alu instid0(VALU_DEP_3) | instskip(NEXT) | instid1(VALU_DEP_3)
	v_readfirstlane_b32 s7, v1
	v_cvt_u32_f32_e32 v2, v2
	s_delay_alu instid0(VALU_DEP_3) | instskip(NEXT) | instid1(VALU_DEP_1)
	s_and_b32 vcc_lo, exec_lo, s3
	v_readfirstlane_b32 s9, v2
	s_cbranch_vccnz .LBB23_2
; %bb.1:
	s_sub_i32 s3, s36, s2
	s_add_i32 s4, s36, 1
	s_lshl_b32 s3, s3, 1
	v_mov_b32_e32 v1, s10
	s_or_b32 s3, s3, 1
	s_cmp_lt_u32 s36, s2
	s_cselect_b32 vcc_lo, -1, 0
	s_delay_alu instid0(VALU_DEP_1)
	v_cndmask_b32_e32 v3, s11, v1, vcc_lo
	s_and_b32 s2, vcc_lo, exec_lo
	s_cselect_b32 s2, s4, s3
	s_mov_b32 s3, 0x3e76c4e1
	v_cvt_f32_i32_e32 v1, s2
	v_cmp_neq_f32_e32 vcc_lo, 1.0, v3
	s_delay_alu instid0(VALU_DEP_2) | instskip(NEXT) | instid1(VALU_DEP_1)
	v_cndmask_b32_e32 v4, 1.0, v1, vcc_lo
	v_cmp_eq_f32_e32 vcc_lo, 0, v4
	v_cndmask_b32_e64 v5, |v3|, 1.0, vcc_lo
	s_delay_alu instid0(VALU_DEP_1) | instskip(NEXT) | instid1(VALU_DEP_1)
	v_frexp_mant_f32_e32 v1, v5
	v_cmp_gt_f32_e64 s2, 0x3f2aaaab, v1
	s_delay_alu instid0(VALU_DEP_1) | instskip(NEXT) | instid1(VALU_DEP_1)
	v_cndmask_b32_e64 v2, 1.0, 2.0, s2
	v_mul_f32_e32 v1, v1, v2
	s_delay_alu instid0(VALU_DEP_1) | instskip(SKIP_1) | instid1(VALU_DEP_2)
	v_add_f32_e32 v2, 1.0, v1
	v_add_f32_e32 v7, -1.0, v1
	v_rcp_f32_e32 v6, v2
	s_waitcnt_depctr 0xfff
	v_mul_f32_e32 v8, v7, v6
	s_delay_alu instid0(VALU_DEP_1) | instskip(NEXT) | instid1(VALU_DEP_1)
	v_dual_add_f32 v9, -1.0, v2 :: v_dual_mul_f32 v10, v2, v8
	v_sub_f32_e32 v1, v1, v9
	v_cndmask_b32_e64 v3, v3, 1.0, vcc_lo
	s_delay_alu instid0(VALU_DEP_3) | instskip(NEXT) | instid1(VALU_DEP_2)
	v_fma_f32 v2, v8, v2, -v10
	v_cmp_eq_f32_e64 s4, 0, v3
	s_delay_alu instid0(VALU_DEP_2) | instskip(NEXT) | instid1(VALU_DEP_1)
	v_fmac_f32_e32 v2, v8, v1
	v_add_f32_e32 v1, v10, v2
	s_delay_alu instid0(VALU_DEP_1) | instskip(NEXT) | instid1(VALU_DEP_1)
	v_dual_sub_f32 v10, v1, v10 :: v_dual_sub_f32 v9, v7, v1
	v_dual_sub_f32 v2, v10, v2 :: v_dual_sub_f32 v7, v7, v9
	s_delay_alu instid0(VALU_DEP_1) | instskip(NEXT) | instid1(VALU_DEP_1)
	v_sub_f32_e32 v1, v7, v1
	v_add_f32_e32 v1, v2, v1
	s_delay_alu instid0(VALU_DEP_1) | instskip(NEXT) | instid1(VALU_DEP_1)
	v_add_f32_e32 v1, v9, v1
	v_mul_f32_e32 v1, v6, v1
	s_delay_alu instid0(VALU_DEP_1) | instskip(NEXT) | instid1(VALU_DEP_1)
	v_add_f32_e32 v6, v8, v1
	v_sub_f32_e32 v2, v6, v8
	v_mul_f32_e32 v7, v6, v6
	s_delay_alu instid0(VALU_DEP_2) | instskip(NEXT) | instid1(VALU_DEP_2)
	v_sub_f32_e32 v8, v1, v2
	v_fma_f32 v9, v6, v6, -v7
	s_delay_alu instid0(VALU_DEP_2) | instskip(NEXT) | instid1(VALU_DEP_1)
	v_add_f32_e32 v1, v8, v8
	v_fmac_f32_e32 v9, v6, v1
	v_cvt_f64_f32_e32 v[1:2], v5
	s_delay_alu instid0(VALU_DEP_2) | instskip(NEXT) | instid1(VALU_DEP_1)
	v_add_f32_e32 v10, v7, v9
	v_fmaak_f32 v11, s3, v10, 0x3e91f4c4
	v_sub_f32_e32 v7, v10, v7
	v_mul_f32_e32 v14, v6, v10
	s_delay_alu instid0(VALU_DEP_3) | instskip(NEXT) | instid1(VALU_DEP_3)
	v_fmaak_f32 v11, v10, v11, 0x3ecccdef
	v_sub_f32_e32 v7, v9, v7
	s_delay_alu instid0(VALU_DEP_2) | instskip(NEXT) | instid1(VALU_DEP_1)
	v_mul_f32_e32 v12, v10, v11
	v_fma_f32 v9, v10, v11, -v12
	s_delay_alu instid0(VALU_DEP_1) | instskip(NEXT) | instid1(VALU_DEP_1)
	v_fmac_f32_e32 v9, v7, v11
	v_add_f32_e32 v11, v12, v9
	v_frexp_exp_i32_f64_e32 v1, v[1:2]
	s_delay_alu instid0(VALU_DEP_2) | instskip(NEXT) | instid1(VALU_DEP_1)
	v_sub_f32_e32 v12, v11, v12
	v_sub_f32_e32 v2, v9, v12
	v_fma_f32 v12, v10, v6, -v14
	s_delay_alu instid0(VALU_DEP_2) | instskip(NEXT) | instid1(VALU_DEP_2)
	v_add_f32_e32 v2, 0x31739010, v2
	v_dual_add_f32 v13, 0x3f2aaaaa, v11 :: v_dual_fmac_f32 v12, v10, v8
	v_ldexp_f32 v8, v8, 1
	s_delay_alu instid0(VALU_DEP_2) | instskip(NEXT) | instid1(VALU_DEP_1)
	v_dual_add_f32 v9, 0xbf2aaaaa, v13 :: v_dual_fmac_f32 v12, v7, v6
	v_sub_f32_e32 v9, v11, v9
	s_delay_alu instid0(VALU_DEP_1) | instskip(NEXT) | instid1(VALU_DEP_3)
	v_add_f32_e32 v2, v2, v9
	v_add_f32_e32 v9, v14, v12
	s_delay_alu instid0(VALU_DEP_2) | instskip(NEXT) | instid1(VALU_DEP_1)
	v_add_f32_e32 v7, v13, v2
	v_sub_f32_e32 v10, v13, v7
	s_delay_alu instid0(VALU_DEP_3) | instskip(SKIP_2) | instid1(VALU_DEP_4)
	v_mul_f32_e32 v11, v9, v7
	v_sub_f32_e32 v13, v9, v14
	v_subrev_co_ci_u32_e64 v1, s2, 0, v1, s2
	v_add_f32_e32 v2, v2, v10
	s_delay_alu instid0(VALU_DEP_4) | instskip(NEXT) | instid1(VALU_DEP_4)
	v_fma_f32 v10, v9, v7, -v11
	v_sub_f32_e32 v12, v12, v13
	s_delay_alu instid0(VALU_DEP_4) | instskip(NEXT) | instid1(VALU_DEP_3)
	v_cvt_f32_i32_e32 v1, v1
	v_fmac_f32_e32 v10, v9, v2
	v_ldexp_f32 v2, v6, 1
	s_delay_alu instid0(VALU_DEP_2) | instskip(NEXT) | instid1(VALU_DEP_1)
	v_fmac_f32_e32 v10, v12, v7
	v_add_f32_e32 v6, v11, v10
	s_delay_alu instid0(VALU_DEP_1) | instskip(NEXT) | instid1(VALU_DEP_1)
	v_add_f32_e32 v7, v2, v6
	v_dual_sub_f32 v2, v7, v2 :: v_dual_sub_f32 v9, v6, v11
	s_delay_alu instid0(VALU_DEP_1) | instskip(NEXT) | instid1(VALU_DEP_2)
	v_sub_f32_e32 v2, v6, v2
	v_sub_f32_e32 v9, v10, v9
	s_delay_alu instid0(VALU_DEP_1) | instskip(NEXT) | instid1(VALU_DEP_1)
	v_add_f32_e32 v6, v8, v9
	v_dual_mul_f32 v11, 0x3f317218, v1 :: v_dual_add_f32 v2, v6, v2
	s_delay_alu instid0(VALU_DEP_1) | instskip(NEXT) | instid1(VALU_DEP_2)
	v_fma_f32 v10, 0x3f317218, v1, -v11
	v_add_f32_e32 v8, v7, v2
	s_delay_alu instid0(VALU_DEP_1) | instskip(NEXT) | instid1(VALU_DEP_1)
	v_sub_f32_e32 v7, v8, v7
	v_dual_fmamk_f32 v1, v1, 0xb102e308, v10 :: v_dual_sub_f32 v2, v2, v7
	s_delay_alu instid0(VALU_DEP_1) | instskip(NEXT) | instid1(VALU_DEP_1)
	v_add_f32_e32 v6, v11, v1
	v_add_f32_e32 v9, v6, v8
	s_delay_alu instid0(VALU_DEP_1) | instskip(NEXT) | instid1(VALU_DEP_1)
	v_dual_sub_f32 v11, v6, v11 :: v_dual_sub_f32 v10, v9, v6
	v_sub_f32_e32 v12, v9, v10
	s_delay_alu instid0(VALU_DEP_2) | instskip(NEXT) | instid1(VALU_DEP_2)
	v_sub_f32_e32 v1, v1, v11
	v_dual_sub_f32 v7, v8, v10 :: v_dual_sub_f32 v6, v6, v12
	s_delay_alu instid0(VALU_DEP_2) | instskip(NEXT) | instid1(VALU_DEP_2)
	v_add_f32_e32 v8, v1, v2
	v_add_f32_e32 v6, v7, v6
	s_delay_alu instid0(VALU_DEP_1) | instskip(NEXT) | instid1(VALU_DEP_1)
	v_add_f32_e32 v6, v8, v6
	v_dual_sub_f32 v7, v8, v1 :: v_dual_add_f32 v10, v9, v6
	s_delay_alu instid0(VALU_DEP_1) | instskip(SKIP_1) | instid1(VALU_DEP_3)
	v_sub_f32_e32 v8, v8, v7
	v_sub_f32_e32 v2, v2, v7
	;; [unrolled: 1-line block ×3, first 2 shown]
	s_delay_alu instid0(VALU_DEP_3) | instskip(NEXT) | instid1(VALU_DEP_1)
	v_sub_f32_e32 v1, v1, v8
	v_add_f32_e32 v1, v2, v1
	s_delay_alu instid0(VALU_DEP_3) | instskip(NEXT) | instid1(VALU_DEP_1)
	v_sub_f32_e32 v2, v6, v7
	v_add_f32_e32 v1, v1, v2
	s_delay_alu instid0(VALU_DEP_1) | instskip(NEXT) | instid1(VALU_DEP_1)
	v_add_f32_e32 v2, v10, v1
	v_mul_f32_e32 v7, v4, v2
	v_sub_f32_e32 v6, v2, v10
	s_delay_alu instid0(VALU_DEP_2) | instskip(NEXT) | instid1(VALU_DEP_2)
	v_fma_f32 v2, v4, v2, -v7
	v_sub_f32_e32 v1, v1, v6
	v_cmp_class_f32_e64 s2, v7, 0x204
	s_delay_alu instid0(VALU_DEP_2) | instskip(NEXT) | instid1(VALU_DEP_1)
	v_fmac_f32_e32 v2, v4, v1
	v_add_f32_e32 v1, v7, v2
	s_delay_alu instid0(VALU_DEP_1) | instskip(NEXT) | instid1(VALU_DEP_1)
	v_cndmask_b32_e64 v6, v1, v7, s2
	v_cmp_eq_f32_e64 s2, 0x42b17218, v6
	s_delay_alu instid0(VALU_DEP_1) | instskip(SKIP_1) | instid1(VALU_DEP_2)
	v_cndmask_b32_e64 v8, 0, 0x37000000, s2
	v_cmp_neq_f32_e64 s2, 0x7f800000, |v6|
	v_sub_f32_e32 v9, v6, v8
	v_trunc_f32_e32 v6, v4
	s_delay_alu instid0(VALU_DEP_2) | instskip(NEXT) | instid1(VALU_DEP_1)
	v_mul_f32_e32 v10, 0x3fb8aa3b, v9
	v_fma_f32 v11, 0x3fb8aa3b, v9, -v10
	v_rndne_f32_e32 v12, v10
	s_delay_alu instid0(VALU_DEP_1) | instskip(NEXT) | instid1(VALU_DEP_1)
	v_dual_fmamk_f32 v11, v9, 0x32a5705f, v11 :: v_dual_sub_f32 v10, v10, v12
	v_add_f32_e32 v10, v10, v11
	v_sub_f32_e32 v1, v1, v7
	v_cvt_i32_f32_e32 v7, v12
	s_delay_alu instid0(VALU_DEP_3) | instskip(NEXT) | instid1(VALU_DEP_2)
	v_exp_f32_e32 v10, v10
	v_sub_f32_e32 v1, v2, v1
	s_delay_alu instid0(VALU_DEP_1)
	v_cndmask_b32_e64 v1, 0, v1, s2
	v_cmp_ngt_f32_e64 s2, 0xc2ce8ed0, v9
	s_waitcnt_depctr 0xfff
	v_ldexp_f32 v2, v10, v7
	v_mul_f32_e32 v7, 0.5, v4
	v_add_f32_e32 v1, v8, v1
	s_delay_alu instid0(VALU_DEP_3) | instskip(NEXT) | instid1(VALU_DEP_3)
	v_cndmask_b32_e64 v2, 0, v2, s2
	v_trunc_f32_e32 v10, v7
	v_cmp_nlt_f32_e64 s2, 0x42b17218, v9
	s_delay_alu instid0(VALU_DEP_2) | instskip(NEXT) | instid1(VALU_DEP_2)
	v_cmp_neq_f32_e64 s3, v10, v7
	v_cndmask_b32_e64 v2, 0x7f800000, v2, s2
	v_cmp_eq_f32_e64 s2, v6, v4
	s_delay_alu instid0(VALU_DEP_2) | instskip(NEXT) | instid1(VALU_DEP_2)
	v_fma_f32 v1, v2, v1, v2
	s_and_b32 vcc_lo, s2, s3
	v_cmp_class_f32_e64 s3, v2, 0x204
	v_cndmask_b32_e32 v6, 1.0, v3, vcc_lo
	s_delay_alu instid0(VALU_DEP_2) | instskip(SKIP_1) | instid1(VALU_DEP_2)
	v_cndmask_b32_e64 v1, v1, v2, s3
	v_cmp_gt_f32_e64 s3, 0, v4
	v_bfi_b32 v1, 0x7fffffff, v1, v6
	v_cndmask_b32_e32 v6, 0, v3, vcc_lo
	s_delay_alu instid0(VALU_DEP_3)
	s_xor_b32 s3, s3, s4
	v_cmp_eq_f32_e32 vcc_lo, 0x7f800000, v5
	v_cndmask_b32_e64 v2, 0x7f800000, 0, s3
	v_cndmask_b32_e64 v4, 0x7fc00000, v1, s2
	v_cmp_gt_f32_e64 s2, 0, v3
	s_or_b32 vcc_lo, vcc_lo, s4
	s_delay_alu instid0(VALU_DEP_3) | instskip(NEXT) | instid1(VALU_DEP_2)
	v_bfi_b32 v2, 0x7fffffff, v2, v6
	v_cndmask_b32_e64 v1, v1, v4, s2
	s_delay_alu instid0(VALU_DEP_1) | instskip(SKIP_1) | instid1(VALU_DEP_2)
	v_cndmask_b32_e32 v1, v1, v2, vcc_lo
	v_cmp_o_f32_e32 vcc_lo, v3, v3
	v_cndmask_b32_e32 v39, 0x7fc00000, v1, vcc_lo
.LBB23_2:
	s_clause 0x1
	s_load_b128 s[40:43], s[0:1], 0x70
	s_load_b512 s[16:31], s[0:1], 0x0
	v_and_b32_e32 v37, 0x3ff, v0
	v_mov_b32_e32 v41, 0
	s_delay_alu instid0(VALU_DEP_2) | instskip(NEXT) | instid1(VALU_DEP_1)
	v_lshlrev_b32_e32 v35, 2, v37
	v_and_b32_e32 v36, 28, v35
	s_delay_alu instid0(VALU_DEP_1)
	v_lshlrev_b32_e32 v5, 3, v36
	s_waitcnt lgkmcnt(0)
	s_mul_i32 s2, s12, s42
	s_mul_i32 s3, s13, s40
	;; [unrolled: 1-line block ×3, first 2 shown]
	s_add_i32 s2, s2, s3
	s_delay_alu instid0(SALU_CYCLE_1) | instskip(NEXT) | instid1(SALU_CYCLE_1)
	s_add_i32 s2, s2, s4
	s_ashr_i32 s3, s2, 31
	s_add_u32 s2, s16, s2
	s_addc_u32 s3, s17, s3
	s_clause 0x7
	global_load_b128 v[25:28], v5, s[2:3] offset:16
	global_load_b128 v[29:32], v5, s[2:3]
	global_load_b128 v[17:20], v5, s[2:3] offset:272
	global_load_b128 v[21:24], v5, s[2:3] offset:256
	;; [unrolled: 1-line block ×6, first 2 shown]
	s_cmp_eq_u64 s[26:27], 0
	s_cbranch_scc1 .LBB23_4
; %bb.3:
	s_load_b32 s2, s[0:1], 0xd0
	s_mov_b32 s3, 0
	s_waitcnt lgkmcnt(0)
	s_mul_i32 s2, s2, s12
	s_delay_alu instid0(SALU_CYCLE_1) | instskip(NEXT) | instid1(SALU_CYCLE_1)
	s_add_i32 s2, s2, s13
	s_lshl_b64 s[2:3], s[2:3], 2
	s_delay_alu instid0(SALU_CYCLE_1)
	s_add_u32 s2, s26, s2
	s_addc_u32 s3, s27, s3
	s_load_b32 s38, s[2:3], 0x0
.LBB23_4:
	v_bfe_u32 v38, v0, 10, 10
	v_dual_mov_b32 v99, 0xfeffffff :: v_dual_mov_b32 v52, 0
	v_mbcnt_lo_u32_b32 v0, -1, 0
	v_dual_mov_b32 v55, 0 :: v_dual_mov_b32 v54, 0
	s_delay_alu instid0(VALU_DEP_4) | instskip(SKIP_2) | instid1(VALU_DEP_3)
	v_dual_mov_b32 v56, 0 :: v_dual_lshlrev_b32 v77, 5, v38
	v_dual_mov_b32 v53, 0 :: v_dual_mov_b32 v50, 0
	v_dual_mov_b32 v49, 0 :: v_dual_mov_b32 v46, 0
	v_dual_mov_b32 v48, 0 :: v_dual_add_nc_u32 v33, v77, v37
	v_mov_b32_e32 v51, 0
	v_dual_mov_b32 v47, 0 :: v_dual_mov_b32 v44, 0
	s_delay_alu instid0(VALU_DEP_3)
	v_dual_mov_b32 v45, 0 :: v_dual_lshlrev_b32 v34, 1, v33
	v_dual_mov_b32 v42, 0 :: v_dual_mov_b32 v43, 0
	v_mov_b32_e32 v40, 0
	s_lshl_b32 s16, s14, 7
	s_mov_b32 s27, 0
	s_waitcnt lgkmcnt(0)
	s_cmp_ge_i32 s16, s38
	s_cbranch_scc1 .LBB23_24
; %bb.5:
	s_sub_i32 s2, 0, s33
	s_abs_i32 s37, s36
	s_mul_i32 s2, s2, s9
	v_cvt_f16_f32_e32 v40, s8
	s_mul_hi_u32 s2, s9, s2
	s_sub_i32 s3, 0, s15
	s_add_i32 s9, s9, s2
	s_mul_i32 s3, s3, s7
	s_mul_hi_u32 s2, s37, s9
	s_clause 0x1
	s_load_b64 s[40:41], s[0:1], 0x8c
	s_load_b128 s[8:11], s[0:1], 0x98
	s_mul_hi_u32 s3, s7, s3
	s_abs_i32 s4, s12
	s_add_i32 s7, s7, s3
	s_ashr_i32 s17, s12, 31
	s_mul_hi_u32 s26, s4, s7
	s_ashr_i32 s3, s36, 31
	s_ashr_i32 s6, s6, 31
	s_add_i32 s39, s2, 1
	s_xor_b32 s3, s3, s6
	s_waitcnt vmcnt(7)
	v_cvt_f16_f32_e32 v25, v25
	v_cvt_f16_f32_e32 v26, v26
	s_waitcnt vmcnt(3)
	v_cvt_f16_f32_e32 v9, v9
	v_cvt_f16_f32_e32 v10, v10
	;; [unrolled: 1-line block ×6, first 2 shown]
	v_pack_b32_f16 v25, v25, v26
	v_cvt_f16_f32_e32 v26, v27
	s_waitcnt lgkmcnt(0)
	s_mul_i32 s7, s12, s9
	s_mul_hi_u32 s9, s12, s8
	v_cvt_f16_f32_e32 v27, v28
	s_add_i32 s7, s9, s7
	s_mul_i32 s9, s17, s8
	v_cvt_f16_f32_e32 v21, v21
	s_add_i32 s9, s7, s9
	s_mul_i32 s7, s2, s33
	v_cvt_f16_f32_e32 v22, v22
	s_sub_i32 s37, s37, s7
	s_load_b64 s[6:7], s[0:1], 0xa8
	s_sub_i32 s42, s37, s33
	s_cmp_ge_u32 s37, s33
	v_cvt_f16_f32_e32 v23, v23
	s_cselect_b32 s2, s39, s2
	s_cselect_b32 s37, s42, s37
	s_add_i32 s39, s2, 1
	s_cmp_ge_u32 s37, s33
	v_cvt_f16_f32_e32 v24, v24
	s_cselect_b32 s2, s39, s2
	v_cvt_f16_f32_e32 v17, v17
	s_xor_b32 s2, s2, s3
	v_cvt_f16_f32_e32 v18, v18
	s_sub_i32 s33, s2, s3
	s_mul_i32 s3, s12, s8
	s_mul_i32 s2, s33, s41
	v_cvt_f16_f32_e32 v19, v19
	s_ashr_i32 s8, s2, 31
	s_add_u32 s3, s18, s3
	s_addc_u32 s9, s19, s9
	s_waitcnt lgkmcnt(0)
	s_mul_i32 s7, s12, s7
	s_mul_hi_u32 s18, s12, s6
	s_add_u32 s37, s3, s2
	v_cvt_f16_f32_e32 v20, v20
	s_waitcnt vmcnt(2)
	v_cvt_f16_f32_e32 v13, v13
	v_cvt_f16_f32_e32 v14, v14
	;; [unrolled: 1-line block ×4, first 2 shown]
	v_pack_b32_f16 v9, v9, v10
	v_cvt_f16_f32_e32 v10, v11
	v_cvt_f16_f32_e32 v11, v12
	s_waitcnt vmcnt(0)
	v_cvt_f16_f32_e32 v5, v5
	v_cvt_f16_f32_e32 v6, v6
	;; [unrolled: 1-line block ×6, first 2 shown]
	s_addc_u32 s8, s9, s8
	s_add_i32 s7, s18, s7
	s_mul_i32 s9, s17, s6
	s_mul_i32 s33, s33, s11
	v_dual_mov_b32 v98, 0xfeffffff :: v_dual_and_b32 v41, 24, v0
	s_mul_i32 s6, s12, s6
	s_add_i32 s7, s7, s9
	s_ashr_i32 s9, s33, 31
	s_clause 0x1
	s_load_b64 s[2:3], s[0:1], 0xc8
	s_load_b32 s39, s[0:1], 0xd4
	s_add_u32 s6, s20, s6
	s_addc_u32 s7, s21, s7
	s_mul_i32 s26, s26, s15
	v_pack_b32_f16 v29, v29, v30
	v_pack_b32_f16 v30, v31, v32
	;; [unrolled: 1-line block ×9, first 2 shown]
	v_cvt_f16_f32_e32 v3, v3
	v_cvt_f16_f32_e32 v4, v4
	v_pack_b32_f16 v10, v10, v11
	v_pack_b32_f16 v5, v5, v6
	;; [unrolled: 1-line block ×4, first 2 shown]
	s_add_u32 s6, s6, s33
	v_add_nc_u32_e32 v41, 8, v41
	v_xor_b32_e32 v42, 4, v0
	s_addc_u32 s7, s7, s9
	s_sub_i32 s4, s4, s26
	v_pack_b32_f16 v2, v3, v4
	s_sub_i32 s9, s4, s15
	s_cmp_ge_u32 s4, s15
	v_pk_mul_f16 v3, v40, v29 op_sel_hi:[0,1]
	v_pk_mul_f16 v4, v40, v30 op_sel_hi:[0,1]
	;; [unrolled: 1-line block ×15, first 2 shown]
	v_xor_b32_e32 v43, 2, v0
	v_cmp_lt_i32_e32 vcc_lo, v42, v41
	s_cselect_b32 s4, s9, s4
	v_pk_mul_f16 v40, v40, v2 op_sel_hi:[0,1]
	s_sub_i32 s9, s4, s15
	s_cmp_ge_u32 s4, s15
	v_dual_cndmask_b32 v42, v0, v42 :: v_dual_and_b32 v1, 0x78, v37
	v_lshrrev_b32_e32 v5, 16, v3
	v_lshrrev_b32_e32 v6, 16, v4
	;; [unrolled: 1-line block ×15, first 2 shown]
	v_xor_b32_e32 v44, 1, v0
	v_cmp_lt_i32_e32 vcc_lo, v43, v41
	s_cselect_b32 s4, s9, s4
	v_cvt_f32_f16_e32 v2, v3
	s_xor_b32 s4, s4, s17
	v_cvt_f32_f16_e32 v3, v5
	s_sub_i32 s4, s4, s17
	v_cvt_f32_f16_e32 v5, v6
	v_cvt_f32_f16_e32 v6, v7
	;; [unrolled: 1-line block ×18, first 2 shown]
	v_lshrrev_b32_e32 v40, 16, v40
	v_dual_cndmask_b32 v43, v0, v43 :: v_dual_lshlrev_b32 v60, 2, v42
	v_cmp_lt_i32_e32 vcc_lo, v44, v41
	s_waitcnt lgkmcnt(0)
	s_mul_i32 s3, s4, s3
	s_mul_hi_u32 s9, s4, s2
	s_ashr_i32 s11, s4, 31
	s_add_i32 s3, s9, s3
	s_mul_i32 s11, s11, s2
	s_mul_i32 s4, s4, s2
	v_add_nc_u32_e32 v1, v77, v1
	v_cndmask_b32_e32 v41, v0, v44, vcc_lo
	v_cvt_f32_f16_e32 v58, v40
	v_lshlrev_b32_e32 v40, 3, v37
	s_add_i32 s3, s3, s11
	s_add_u32 s2, s22, s4
	s_mul_i32 s4, s13, s5
	v_lshrrev_b32_e32 v42, 3, v37
	s_addc_u32 s3, s23, s3
	s_ashr_i32 s5, s4, 31
	s_mov_b32 s17, s27
	s_add_u32 s4, s2, s4
	v_lshlrev_b32_e32 v61, 2, v43
	v_dual_mov_b32 v50, 0 :: v_dual_and_b32 v43, 56, v40
	v_mov_b32_e32 v40, 0
	v_mul_lo_u32 v57, v1, s40
	s_addc_u32 s5, s3, s5
	s_lshl_b64 s[2:3], s[16:17], 1
	v_lshlrev_b32_e32 v62, 2, v41
	s_add_u32 s18, s4, s2
	s_mul_i32 s2, s16, s10
	v_dual_mov_b32 v48, 0 :: v_dual_and_b32 v41, 7, v37
	v_xor_b32_e32 v44, 8, v0
	v_dual_mov_b32 v56, 0 :: v_dual_add_nc_u32 v45, v42, v77
	v_or_b32_e32 v42, v77, v42
	s_addc_u32 s19, s5, s3
	s_add_u32 s15, s6, s2
	s_mul_i32 s2, s16, s40
	s_addc_u32 s17, s7, 0
	s_add_u32 s20, s37, s2
	s_addc_u32 s21, s8, 0
	v_add_nc_u32_e32 v59, s40, v57
	v_cmp_eq_u32_e64 s2, 7, v41
	v_cmp_eq_u32_e64 s3, 0, v41
	;; [unrolled: 1-line block ×8, first 2 shown]
	v_xor_b32_e32 v41, 16, v0
	v_cmp_gt_i32_e32 vcc_lo, 32, v44
	v_dual_mov_b32 v53, 0 :: v_dual_add_nc_u32 v46, 8, v45
	v_lshlrev_b32_e32 v79, 1, v42
	v_mul_lo_u32 v80, v42, s10
	v_or_b32_e32 v42, 16, v42
	v_cndmask_b32_e32 v44, v0, v44, vcc_lo
	v_cmp_gt_i32_e32 vcc_lo, 32, v41
	v_mul_lo_u32 v82, v46, s10
	v_add_nc_u32_e32 v46, 24, v45
	v_mul_lo_u32 v84, v42, s10
	v_dual_mov_b32 v42, 0 :: v_dual_add_nc_u32 v63, s40, v59
	v_cndmask_b32_e32 v41, v0, v41, vcc_lo
	v_dual_mov_b32 v52, 0 :: v_dual_lshlrev_b32 v77, 2, v44
	v_dual_mov_b32 v51, 0 :: v_dual_add_nc_u32 v44, 4, v45
	v_mul_lo_u32 v86, v46, s10
	v_mov_b32_e32 v46, 0
	v_add_nc_u32_e32 v64, s40, v63
	v_dual_mov_b32 v55, 0 :: v_dual_lshlrev_b32 v78, 2, v41
	v_mul_lo_u32 v81, v44, s10
	v_add_nc_u32_e32 v41, 12, v45
	s_delay_alu instid0(VALU_DEP_4)
	v_add_nc_u32_e32 v66, s40, v64
	v_add_nc_u32_e32 v44, 20, v45
	;; [unrolled: 1-line block ×3, first 2 shown]
	v_mov_b32_e32 v47, 0
	v_mul_lo_u32 v83, v41, s10
	v_mov_b32_e32 v41, 0
	v_mul_lo_u32 v85, v44, s10
	v_mul_lo_u32 v87, v45, s10
	v_dual_mov_b32 v45, 0 :: v_dual_add_nc_u32 v68, s40, v66
	v_mov_b32_e32 v54, 0
	s_cmp_lg_u64 s[22:23], 0
	v_cvt_f32_f16_e32 v4, v4
	v_cvt_f32_f16_e32 v8, v8
	v_add_nc_u32_e32 v71, s40, v68
	v_cvt_f32_f16_e32 v12, v12
	v_cvt_f32_f16_e32 v16, v16
	;; [unrolled: 1-line block ×4, first 2 shown]
	v_dual_mov_b32 v49, 0 :: v_dual_add_nc_u32 v74, s40, v71
	v_cvt_f32_f16_e32 v22, v22
	v_cvt_f32_f16_e32 v24, v24
	;; [unrolled: 1-line block ×5, first 2 shown]
	v_ashrrev_i32_e32 v65, 31, v57
	v_ashrrev_i32_e32 v67, 31, v59
	;; [unrolled: 1-line block ×16, first 2 shown]
	v_dual_mov_b32 v43, 0 :: v_dual_lshlrev_b32 v96, 1, v43
	v_mov_b32_e32 v44, 0
	s_cselect_b32 s22, -1, 0
	s_lshl_b32 s26, s39, 7
                                        ; implicit-def: $vgpr97
	s_delay_alu instid0(SALU_CYCLE_1)
	s_mul_i32 s23, s26, s40
	s_mul_i32 s33, s26, s10
.LBB23_6:                               ; =>This Inner Loop Header: Depth=1
	v_lshlrev_b32_e32 v99, 2, v36
	s_delay_alu instid0(VALU_DEP_1) | instskip(NEXT) | instid1(VALU_DEP_1)
	v_add_co_u32 v103, s10, s20, v99
	v_add_co_ci_u32_e64 v104, null, s21, 0, s10
	s_delay_alu instid0(VALU_DEP_2) | instskip(NEXT) | instid1(VALU_DEP_2)
	v_add_co_u32 v113, vcc_lo, v103, v57
	v_add_co_ci_u32_e32 v114, vcc_lo, v104, v65, vcc_lo
	s_and_b32 vcc_lo, exec_lo, s22
	s_clause 0x3
	global_load_b128 v[99:102], v[113:114], off
	global_load_b128 v[105:108], v[113:114], off offset:128
	global_load_b128 v[109:112], v[113:114], off offset:256
	;; [unrolled: 1-line block ×3, first 2 shown]
	s_waitcnt vmcnt(3)
	v_lshlrev_b32_e32 v117, 16, v99
	v_and_b32_e32 v99, 0xffff0000, v99
	s_delay_alu instid0(VALU_DEP_2) | instskip(NEXT) | instid1(VALU_DEP_1)
	v_fma_f32 v117, v117, v2, 0
	v_dual_fmac_f32 v117, v99, v3 :: v_dual_lshlrev_b32 v118, 16, v100
	v_and_b32_e32 v99, 0xffff0000, v100
	s_delay_alu instid0(VALU_DEP_2) | instskip(NEXT) | instid1(VALU_DEP_1)
	v_dual_fmac_f32 v117, v118, v4 :: v_dual_lshlrev_b32 v100, 16, v101
	v_fmac_f32_e32 v117, v99, v5
	v_and_b32_e32 v99, 0xffff0000, v101
	s_delay_alu instid0(VALU_DEP_2) | instskip(NEXT) | instid1(VALU_DEP_1)
	v_fmac_f32_e32 v117, v100, v6
	v_dual_fmac_f32 v117, v99, v7 :: v_dual_lshlrev_b32 v100, 16, v102
	v_and_b32_e32 v99, 0xffff0000, v102
	s_delay_alu instid0(VALU_DEP_2) | instskip(SKIP_2) | instid1(VALU_DEP_2)
	v_dual_fmac_f32 v117, v100, v8 :: v_dual_lshlrev_b32 v102, 1, v1
	s_waitcnt vmcnt(2)
	v_lshlrev_b32_e32 v100, 16, v105
	v_fmac_f32_e32 v117, v99, v9
	v_and_b32_e32 v99, 0xffff0000, v105
	s_delay_alu instid0(VALU_DEP_2) | instskip(NEXT) | instid1(VALU_DEP_1)
	v_fmac_f32_e32 v117, v100, v10
	v_dual_fmac_f32 v117, v99, v11 :: v_dual_lshlrev_b32 v100, 16, v106
	v_and_b32_e32 v99, 0xffff0000, v106
	s_delay_alu instid0(VALU_DEP_2) | instskip(NEXT) | instid1(VALU_DEP_1)
	v_dual_fmac_f32 v117, v100, v12 :: v_dual_lshlrev_b32 v100, 16, v107
	v_fmac_f32_e32 v117, v99, v13
	v_and_b32_e32 v99, 0xffff0000, v107
	s_delay_alu instid0(VALU_DEP_2) | instskip(NEXT) | instid1(VALU_DEP_1)
	v_dual_fmac_f32 v117, v100, v14 :: v_dual_lshlrev_b32 v100, 16, v108
	v_fmac_f32_e32 v117, v99, v15
	v_and_b32_e32 v99, 0xffff0000, v108
	s_waitcnt vmcnt(1)
	s_delay_alu instid0(VALU_DEP_2) | instskip(NEXT) | instid1(VALU_DEP_1)
	v_dual_fmac_f32 v117, v100, v16 :: v_dual_lshlrev_b32 v100, 16, v109
	v_fmac_f32_e32 v117, v99, v17
	v_and_b32_e32 v99, 0xffff0000, v109
	s_delay_alu instid0(VALU_DEP_2) | instskip(NEXT) | instid1(VALU_DEP_1)
	v_fmac_f32_e32 v117, v100, v18
	v_dual_fmac_f32 v117, v99, v19 :: v_dual_lshlrev_b32 v100, 16, v110
	v_and_b32_e32 v99, 0xffff0000, v110
	s_delay_alu instid0(VALU_DEP_2) | instskip(NEXT) | instid1(VALU_DEP_1)
	v_dual_fmac_f32 v117, v100, v20 :: v_dual_lshlrev_b32 v100, 16, v111
	v_fmac_f32_e32 v117, v99, v21
	v_and_b32_e32 v99, 0xffff0000, v111
	s_delay_alu instid0(VALU_DEP_2) | instskip(NEXT) | instid1(VALU_DEP_1)
	v_dual_fmac_f32 v117, v100, v22 :: v_dual_lshlrev_b32 v100, 16, v112
	v_fmac_f32_e32 v117, v99, v23
	v_and_b32_e32 v99, 0xffff0000, v112
	s_waitcnt vmcnt(0)
	s_delay_alu instid0(VALU_DEP_2) | instskip(NEXT) | instid1(VALU_DEP_1)
	v_dual_fmac_f32 v117, v24, v100 :: v_dual_lshlrev_b32 v100, 16, v113
	v_fmac_f32_e32 v117, v25, v99
	v_and_b32_e32 v99, 0xffff0000, v113
	s_delay_alu instid0(VALU_DEP_2) | instskip(NEXT) | instid1(VALU_DEP_1)
	v_dual_fmac_f32 v117, v26, v100 :: v_dual_lshlrev_b32 v100, 16, v114
	v_fmac_f32_e32 v117, v27, v99
	v_and_b32_e32 v99, 0xffff0000, v114
	;; [unrolled: 4-line block ×3, first 2 shown]
	s_delay_alu instid0(VALU_DEP_2) | instskip(NEXT) | instid1(VALU_DEP_1)
	v_fmac_f32_e32 v117, v30, v100
	v_dual_fmac_f32 v117, v31, v99 :: v_dual_lshlrev_b32 v100, 16, v116
	v_and_b32_e32 v99, 0xffff0000, v116
	s_delay_alu instid0(VALU_DEP_2) | instskip(NEXT) | instid1(VALU_DEP_1)
	v_fmac_f32_e32 v117, v32, v100
	v_fmac_f32_e32 v117, v58, v99
	ds_bpermute_b32 v99, v60, v117
	s_waitcnt lgkmcnt(0)
	v_add_f32_e32 v99, v117, v99
	ds_bpermute_b32 v100, v61, v99
	s_waitcnt lgkmcnt(0)
	v_add_f32_e32 v99, v99, v100
	ds_bpermute_b32 v100, v62, v99
	s_waitcnt lgkmcnt(0)
	v_add_f32_e32 v99, v99, v100
	s_cbranch_vccz .LBB23_8
; %bb.7:                                ;   in Loop: Header=BB23_6 Depth=1
	global_load_u16 v100, v102, s[18:19]
	s_waitcnt vmcnt(0)
	v_fma_mix_f32 v99, v39, v100, v99 op_sel_hi:[0,1,0]
.LBB23_8:                               ;   in Loop: Header=BB23_6 Depth=1
	v_add_co_u32 v100, vcc_lo, v103, v59
	v_add_co_ci_u32_e32 v101, vcc_lo, v104, v67, vcc_lo
	s_and_not1_b32 vcc_lo, exec_lo, s22
	s_clause 0x3
	global_load_b128 v[105:108], v[100:101], off
	global_load_b128 v[109:112], v[100:101], off offset:128
	global_load_b128 v[113:116], v[100:101], off offset:256
	;; [unrolled: 1-line block ×3, first 2 shown]
	s_waitcnt vmcnt(3)
	v_lshlrev_b32_e32 v100, 16, v105
	v_and_b32_e32 v101, 0xffff0000, v105
	s_delay_alu instid0(VALU_DEP_2) | instskip(NEXT) | instid1(VALU_DEP_1)
	v_fma_f32 v100, v100, v2, 0
	v_dual_fmac_f32 v100, v101, v3 :: v_dual_lshlrev_b32 v105, 16, v106
	s_delay_alu instid0(VALU_DEP_1) | instskip(NEXT) | instid1(VALU_DEP_1)
	v_dual_fmac_f32 v100, v105, v4 :: v_dual_and_b32 v101, 0xffff0000, v106
	v_dual_fmac_f32 v100, v101, v5 :: v_dual_lshlrev_b32 v105, 16, v107
	s_delay_alu instid0(VALU_DEP_1) | instskip(NEXT) | instid1(VALU_DEP_1)
	v_dual_fmac_f32 v100, v105, v6 :: v_dual_and_b32 v101, 0xffff0000, v107
	v_dual_fmac_f32 v100, v101, v7 :: v_dual_lshlrev_b32 v105, 16, v108
	s_waitcnt vmcnt(2)
	s_delay_alu instid0(VALU_DEP_1) | instskip(SKIP_1) | instid1(VALU_DEP_1)
	v_dual_fmac_f32 v100, v105, v8 :: v_dual_lshlrev_b32 v105, 16, v109
	v_and_b32_e32 v101, 0xffff0000, v108
	v_fmac_f32_e32 v100, v101, v9
	s_delay_alu instid0(VALU_DEP_1) | instskip(SKIP_2) | instid1(VALU_DEP_1)
	v_fmac_f32_e32 v100, v105, v10
	v_lshlrev_b32_e32 v105, 16, v110
	v_and_b32_e32 v101, 0xffff0000, v109
	v_dual_fmac_f32 v100, v101, v11 :: v_dual_and_b32 v101, 0xffff0000, v110
	s_delay_alu instid0(VALU_DEP_1) | instskip(NEXT) | instid1(VALU_DEP_1)
	v_dual_fmac_f32 v100, v105, v12 :: v_dual_lshlrev_b32 v105, 16, v111
	v_dual_fmac_f32 v100, v101, v13 :: v_dual_and_b32 v101, 0xffff0000, v111
	s_delay_alu instid0(VALU_DEP_1) | instskip(NEXT) | instid1(VALU_DEP_1)
	v_dual_fmac_f32 v100, v105, v14 :: v_dual_lshlrev_b32 v105, 16, v112
	v_fmac_f32_e32 v100, v101, v15
	s_waitcnt vmcnt(1)
	s_delay_alu instid0(VALU_DEP_1) | instskip(SKIP_1) | instid1(VALU_DEP_1)
	v_dual_fmac_f32 v100, v105, v16 :: v_dual_lshlrev_b32 v105, 16, v113
	v_and_b32_e32 v101, 0xffff0000, v112
	v_fmac_f32_e32 v100, v101, v17
	s_delay_alu instid0(VALU_DEP_1) | instskip(SKIP_2) | instid1(VALU_DEP_1)
	v_fmac_f32_e32 v100, v105, v18
	v_lshlrev_b32_e32 v105, 16, v114
	v_and_b32_e32 v101, 0xffff0000, v113
	v_dual_fmac_f32 v100, v101, v19 :: v_dual_and_b32 v101, 0xffff0000, v114
	s_delay_alu instid0(VALU_DEP_1) | instskip(NEXT) | instid1(VALU_DEP_1)
	v_dual_fmac_f32 v100, v105, v20 :: v_dual_lshlrev_b32 v105, 16, v115
	v_dual_fmac_f32 v100, v101, v21 :: v_dual_and_b32 v101, 0xffff0000, v115
	s_delay_alu instid0(VALU_DEP_1) | instskip(NEXT) | instid1(VALU_DEP_1)
	v_dual_fmac_f32 v100, v105, v22 :: v_dual_lshlrev_b32 v105, 16, v116
	v_fmac_f32_e32 v100, v101, v23
	s_delay_alu instid0(VALU_DEP_1) | instskip(SKIP_3) | instid1(VALU_DEP_1)
	v_fmac_f32_e32 v100, v24, v105
	s_waitcnt vmcnt(0)
	v_lshlrev_b32_e32 v105, 16, v117
	v_and_b32_e32 v101, 0xffff0000, v116
	v_fmac_f32_e32 v100, v25, v101
	v_and_b32_e32 v101, 0xffff0000, v117
	s_delay_alu instid0(VALU_DEP_2) | instskip(NEXT) | instid1(VALU_DEP_1)
	v_dual_fmac_f32 v100, v26, v105 :: v_dual_lshlrev_b32 v105, 16, v118
	v_dual_fmac_f32 v100, v27, v101 :: v_dual_and_b32 v101, 0xffff0000, v118
	s_delay_alu instid0(VALU_DEP_1) | instskip(NEXT) | instid1(VALU_DEP_1)
	v_dual_fmac_f32 v100, v28, v105 :: v_dual_lshlrev_b32 v105, 16, v119
	v_dual_fmac_f32 v100, v29, v101 :: v_dual_and_b32 v101, 0xffff0000, v119
	s_delay_alu instid0(VALU_DEP_1) | instskip(NEXT) | instid1(VALU_DEP_1)
	v_dual_fmac_f32 v100, v30, v105 :: v_dual_and_b32 v105, 0xffff0000, v120
	v_dual_fmac_f32 v100, v31, v101 :: v_dual_lshlrev_b32 v101, 16, v120
	s_delay_alu instid0(VALU_DEP_1) | instskip(NEXT) | instid1(VALU_DEP_1)
	v_fmac_f32_e32 v100, v32, v101
	v_fmac_f32_e32 v100, v58, v105
	ds_bpermute_b32 v101, v60, v100
	s_waitcnt lgkmcnt(0)
	v_add_f32_e32 v100, v100, v101
	ds_bpermute_b32 v101, v61, v100
	s_waitcnt lgkmcnt(0)
	v_add_f32_e32 v100, v100, v101
	;; [unrolled: 3-line block ×3, first 2 shown]
	s_cbranch_vccnz .LBB23_10
; %bb.9:                                ;   in Loop: Header=BB23_6 Depth=1
	global_load_u16 v101, v102, s[18:19] offset:2
	s_waitcnt vmcnt(0)
	v_fma_mix_f32 v100, v39, v101, v100 op_sel_hi:[0,1,0]
.LBB23_10:                              ;   in Loop: Header=BB23_6 Depth=1
	v_add_co_u32 v117, vcc_lo, v103, v63
	v_add_co_ci_u32_e32 v118, vcc_lo, v104, v69, vcc_lo
	s_and_not1_b32 vcc_lo, exec_lo, s22
	s_clause 0x3
	global_load_b128 v[105:108], v[117:118], off
	global_load_b128 v[109:112], v[117:118], off offset:128
	global_load_b128 v[113:116], v[117:118], off offset:256
	;; [unrolled: 1-line block ×3, first 2 shown]
	s_waitcnt vmcnt(3)
	v_lshlrev_b32_e32 v101, 16, v105
	v_and_b32_e32 v105, 0xffff0000, v105
	v_lshlrev_b32_e32 v121, 16, v106
	s_delay_alu instid0(VALU_DEP_3) | instskip(NEXT) | instid1(VALU_DEP_1)
	v_fma_f32 v101, v101, v2, 0
	v_fmac_f32_e32 v101, v105, v3
	v_and_b32_e32 v105, 0xffff0000, v106
	s_delay_alu instid0(VALU_DEP_2) | instskip(NEXT) | instid1(VALU_DEP_1)
	v_dual_fmac_f32 v101, v121, v4 :: v_dual_lshlrev_b32 v106, 16, v107
	v_fmac_f32_e32 v101, v105, v5
	v_and_b32_e32 v105, 0xffff0000, v107
	s_delay_alu instid0(VALU_DEP_2) | instskip(NEXT) | instid1(VALU_DEP_1)
	v_dual_fmac_f32 v101, v106, v6 :: v_dual_lshlrev_b32 v106, 16, v108
	v_fmac_f32_e32 v101, v105, v7
	v_and_b32_e32 v105, 0xffff0000, v108
	s_waitcnt vmcnt(2)
	s_delay_alu instid0(VALU_DEP_2) | instskip(NEXT) | instid1(VALU_DEP_1)
	v_dual_fmac_f32 v101, v106, v8 :: v_dual_lshlrev_b32 v106, 16, v109
	v_fmac_f32_e32 v101, v105, v9
	v_and_b32_e32 v105, 0xffff0000, v109
	s_delay_alu instid0(VALU_DEP_2) | instskip(NEXT) | instid1(VALU_DEP_1)
	v_fmac_f32_e32 v101, v106, v10
	v_dual_fmac_f32 v101, v105, v11 :: v_dual_lshlrev_b32 v106, 16, v110
	v_and_b32_e32 v105, 0xffff0000, v110
	s_delay_alu instid0(VALU_DEP_2) | instskip(NEXT) | instid1(VALU_DEP_1)
	v_dual_fmac_f32 v101, v106, v12 :: v_dual_lshlrev_b32 v106, 16, v111
	v_fmac_f32_e32 v101, v105, v13
	v_and_b32_e32 v105, 0xffff0000, v111
	s_delay_alu instid0(VALU_DEP_2) | instskip(NEXT) | instid1(VALU_DEP_1)
	v_dual_fmac_f32 v101, v106, v14 :: v_dual_lshlrev_b32 v106, 16, v112
	v_fmac_f32_e32 v101, v105, v15
	v_and_b32_e32 v105, 0xffff0000, v112
	s_waitcnt vmcnt(1)
	s_delay_alu instid0(VALU_DEP_2) | instskip(NEXT) | instid1(VALU_DEP_1)
	v_dual_fmac_f32 v101, v106, v16 :: v_dual_lshlrev_b32 v106, 16, v113
	v_fmac_f32_e32 v101, v105, v17
	v_and_b32_e32 v105, 0xffff0000, v113
	s_delay_alu instid0(VALU_DEP_2) | instskip(NEXT) | instid1(VALU_DEP_1)
	v_fmac_f32_e32 v101, v106, v18
	v_dual_fmac_f32 v101, v105, v19 :: v_dual_lshlrev_b32 v106, 16, v114
	;; [unrolled: 17-line block ×3, first 2 shown]
	v_and_b32_e32 v105, 0xffff0000, v118
	s_delay_alu instid0(VALU_DEP_2) | instskip(NEXT) | instid1(VALU_DEP_1)
	v_dual_fmac_f32 v101, v28, v106 :: v_dual_lshlrev_b32 v106, 16, v119
	v_fmac_f32_e32 v101, v29, v105
	v_and_b32_e32 v105, 0xffff0000, v119
	s_delay_alu instid0(VALU_DEP_2) | instskip(NEXT) | instid1(VALU_DEP_1)
	v_dual_fmac_f32 v101, v30, v106 :: v_dual_and_b32 v106, 0xffff0000, v120
	v_fmac_f32_e32 v101, v31, v105
	v_lshlrev_b32_e32 v105, 16, v120
	s_delay_alu instid0(VALU_DEP_1) | instskip(NEXT) | instid1(VALU_DEP_1)
	v_fmac_f32_e32 v101, v32, v105
	v_fmac_f32_e32 v101, v58, v106
	ds_bpermute_b32 v105, v60, v101
	s_waitcnt lgkmcnt(0)
	v_add_f32_e32 v101, v101, v105
	ds_bpermute_b32 v105, v61, v101
	s_waitcnt lgkmcnt(0)
	v_add_f32_e32 v101, v101, v105
	;; [unrolled: 3-line block ×3, first 2 shown]
	s_cbranch_vccnz .LBB23_12
; %bb.11:                               ;   in Loop: Header=BB23_6 Depth=1
	global_load_u16 v105, v102, s[18:19] offset:4
	s_waitcnt vmcnt(0)
	v_fma_mix_f32 v101, v39, v105, v101 op_sel_hi:[0,1,0]
.LBB23_12:                              ;   in Loop: Header=BB23_6 Depth=1
	v_add_co_u32 v117, vcc_lo, v103, v64
	v_add_co_ci_u32_e32 v118, vcc_lo, v104, v70, vcc_lo
	s_and_not1_b32 vcc_lo, exec_lo, s22
	s_clause 0x3
	global_load_b128 v[105:108], v[117:118], off
	global_load_b128 v[109:112], v[117:118], off offset:128
	global_load_b128 v[113:116], v[117:118], off offset:256
	;; [unrolled: 1-line block ×3, first 2 shown]
	s_waitcnt vmcnt(3)
	v_lshlrev_b32_e32 v121, 16, v105
	v_and_b32_e32 v105, 0xffff0000, v105
	s_delay_alu instid0(VALU_DEP_2) | instskip(NEXT) | instid1(VALU_DEP_1)
	v_fma_f32 v121, v121, v2, 0
	v_dual_fmac_f32 v121, v105, v3 :: v_dual_lshlrev_b32 v122, 16, v106
	v_and_b32_e32 v105, 0xffff0000, v106
	s_delay_alu instid0(VALU_DEP_2) | instskip(NEXT) | instid1(VALU_DEP_1)
	v_dual_fmac_f32 v121, v122, v4 :: v_dual_lshlrev_b32 v106, 16, v107
	v_fmac_f32_e32 v121, v105, v5
	v_and_b32_e32 v105, 0xffff0000, v107
	s_delay_alu instid0(VALU_DEP_2) | instskip(NEXT) | instid1(VALU_DEP_1)
	v_dual_fmac_f32 v121, v106, v6 :: v_dual_lshlrev_b32 v106, 16, v108
	v_fmac_f32_e32 v121, v105, v7
	v_and_b32_e32 v105, 0xffff0000, v108
	s_waitcnt vmcnt(2)
	s_delay_alu instid0(VALU_DEP_2) | instskip(NEXT) | instid1(VALU_DEP_1)
	v_dual_fmac_f32 v121, v106, v8 :: v_dual_lshlrev_b32 v106, 16, v109
	v_fmac_f32_e32 v121, v105, v9
	v_and_b32_e32 v105, 0xffff0000, v109
	s_delay_alu instid0(VALU_DEP_2) | instskip(NEXT) | instid1(VALU_DEP_1)
	v_fmac_f32_e32 v121, v106, v10
	v_dual_fmac_f32 v121, v105, v11 :: v_dual_lshlrev_b32 v106, 16, v110
	v_and_b32_e32 v105, 0xffff0000, v110
	s_delay_alu instid0(VALU_DEP_2) | instskip(NEXT) | instid1(VALU_DEP_1)
	v_dual_fmac_f32 v121, v106, v12 :: v_dual_lshlrev_b32 v106, 16, v111
	v_fmac_f32_e32 v121, v105, v13
	v_and_b32_e32 v105, 0xffff0000, v111
	s_delay_alu instid0(VALU_DEP_2) | instskip(NEXT) | instid1(VALU_DEP_1)
	v_dual_fmac_f32 v121, v106, v14 :: v_dual_lshlrev_b32 v106, 16, v112
	v_fmac_f32_e32 v121, v105, v15
	v_and_b32_e32 v105, 0xffff0000, v112
	s_waitcnt vmcnt(1)
	s_delay_alu instid0(VALU_DEP_2) | instskip(NEXT) | instid1(VALU_DEP_1)
	v_dual_fmac_f32 v121, v106, v16 :: v_dual_lshlrev_b32 v106, 16, v113
	v_fmac_f32_e32 v121, v105, v17
	v_and_b32_e32 v105, 0xffff0000, v113
	s_delay_alu instid0(VALU_DEP_2) | instskip(NEXT) | instid1(VALU_DEP_1)
	v_fmac_f32_e32 v121, v106, v18
	;; [unrolled: 17-line block ×3, first 2 shown]
	v_dual_fmac_f32 v121, v27, v105 :: v_dual_lshlrev_b32 v106, 16, v118
	v_and_b32_e32 v105, 0xffff0000, v118
	s_delay_alu instid0(VALU_DEP_2) | instskip(NEXT) | instid1(VALU_DEP_1)
	v_dual_fmac_f32 v121, v28, v106 :: v_dual_lshlrev_b32 v106, 16, v119
	v_fmac_f32_e32 v121, v29, v105
	v_and_b32_e32 v105, 0xffff0000, v119
	s_delay_alu instid0(VALU_DEP_2) | instskip(NEXT) | instid1(VALU_DEP_1)
	v_dual_fmac_f32 v121, v30, v106 :: v_dual_and_b32 v106, 0xffff0000, v120
	v_fmac_f32_e32 v121, v31, v105
	v_lshlrev_b32_e32 v105, 16, v120
	s_delay_alu instid0(VALU_DEP_1) | instskip(NEXT) | instid1(VALU_DEP_1)
	v_fmac_f32_e32 v121, v32, v105
	v_fmac_f32_e32 v121, v58, v106
	ds_bpermute_b32 v105, v60, v121
	s_waitcnt lgkmcnt(0)
	v_add_f32_e32 v105, v121, v105
	ds_bpermute_b32 v106, v61, v105
	s_waitcnt lgkmcnt(0)
	v_add_f32_e32 v105, v105, v106
	;; [unrolled: 3-line block ×3, first 2 shown]
	s_cbranch_vccnz .LBB23_14
; %bb.13:                               ;   in Loop: Header=BB23_6 Depth=1
	global_load_u16 v106, v102, s[18:19] offset:6
	s_waitcnt vmcnt(0)
	v_fma_mix_f32 v105, v39, v106, v105 op_sel_hi:[0,1,0]
.LBB23_14:                              ;   in Loop: Header=BB23_6 Depth=1
	v_add_co_u32 v118, vcc_lo, v103, v66
	v_add_co_ci_u32_e32 v119, vcc_lo, v104, v72, vcc_lo
	s_and_not1_b32 vcc_lo, exec_lo, s22
	s_clause 0x3
	global_load_b128 v[106:109], v[118:119], off
	global_load_b128 v[110:113], v[118:119], off offset:128
	global_load_b128 v[114:117], v[118:119], off offset:256
	;; [unrolled: 1-line block ×3, first 2 shown]
	s_waitcnt vmcnt(3)
	v_lshlrev_b32_e32 v122, 16, v106
	v_and_b32_e32 v106, 0xffff0000, v106
	s_delay_alu instid0(VALU_DEP_2) | instskip(NEXT) | instid1(VALU_DEP_1)
	v_fma_f32 v122, v122, v2, 0
	v_fmac_f32_e32 v122, v106, v3
	v_and_b32_e32 v106, 0xffff0000, v107
	v_lshlrev_b32_e32 v123, 16, v107
	v_lshlrev_b32_e32 v107, 16, v108
	s_delay_alu instid0(VALU_DEP_2) | instskip(NEXT) | instid1(VALU_DEP_1)
	v_fmac_f32_e32 v122, v123, v4
	v_fmac_f32_e32 v122, v106, v5
	v_and_b32_e32 v106, 0xffff0000, v108
	s_delay_alu instid0(VALU_DEP_2) | instskip(NEXT) | instid1(VALU_DEP_1)
	v_dual_fmac_f32 v122, v107, v6 :: v_dual_lshlrev_b32 v107, 16, v109
	v_fmac_f32_e32 v122, v106, v7
	v_and_b32_e32 v106, 0xffff0000, v109
	s_waitcnt vmcnt(2)
	s_delay_alu instid0(VALU_DEP_2) | instskip(NEXT) | instid1(VALU_DEP_1)
	v_dual_fmac_f32 v122, v107, v8 :: v_dual_lshlrev_b32 v107, 16, v110
	v_fmac_f32_e32 v122, v106, v9
	v_and_b32_e32 v106, 0xffff0000, v110
	s_delay_alu instid0(VALU_DEP_2) | instskip(NEXT) | instid1(VALU_DEP_1)
	v_dual_fmac_f32 v122, v107, v10 :: v_dual_lshlrev_b32 v107, 16, v111
	v_fmac_f32_e32 v122, v106, v11
	v_and_b32_e32 v106, 0xffff0000, v111
	s_delay_alu instid0(VALU_DEP_2) | instskip(NEXT) | instid1(VALU_DEP_1)
	v_fmac_f32_e32 v122, v107, v12
	v_dual_fmac_f32 v122, v106, v13 :: v_dual_lshlrev_b32 v107, 16, v112
	v_and_b32_e32 v106, 0xffff0000, v112
	s_delay_alu instid0(VALU_DEP_2) | instskip(NEXT) | instid1(VALU_DEP_1)
	v_dual_fmac_f32 v122, v107, v14 :: v_dual_lshlrev_b32 v107, 16, v113
	v_fmac_f32_e32 v122, v106, v15
	v_and_b32_e32 v106, 0xffff0000, v113
	s_waitcnt vmcnt(1)
	s_delay_alu instid0(VALU_DEP_2) | instskip(NEXT) | instid1(VALU_DEP_1)
	v_dual_fmac_f32 v122, v107, v16 :: v_dual_lshlrev_b32 v107, 16, v114
	v_fmac_f32_e32 v122, v106, v17
	v_and_b32_e32 v106, 0xffff0000, v114
	s_delay_alu instid0(VALU_DEP_2) | instskip(NEXT) | instid1(VALU_DEP_1)
	v_dual_fmac_f32 v122, v107, v18 :: v_dual_lshlrev_b32 v107, 16, v115
	v_fmac_f32_e32 v122, v106, v19
	v_and_b32_e32 v106, 0xffff0000, v115
	s_delay_alu instid0(VALU_DEP_2) | instskip(NEXT) | instid1(VALU_DEP_1)
	v_fmac_f32_e32 v122, v107, v20
	v_dual_fmac_f32 v122, v106, v21 :: v_dual_lshlrev_b32 v107, 16, v116
	v_and_b32_e32 v106, 0xffff0000, v116
	s_delay_alu instid0(VALU_DEP_2) | instskip(NEXT) | instid1(VALU_DEP_1)
	v_dual_fmac_f32 v122, v107, v22 :: v_dual_lshlrev_b32 v107, 16, v117
	v_fmac_f32_e32 v122, v106, v23
	v_and_b32_e32 v106, 0xffff0000, v117
	s_waitcnt vmcnt(0)
	s_delay_alu instid0(VALU_DEP_2) | instskip(NEXT) | instid1(VALU_DEP_1)
	v_dual_fmac_f32 v122, v24, v107 :: v_dual_lshlrev_b32 v107, 16, v118
	v_fmac_f32_e32 v122, v25, v106
	v_and_b32_e32 v106, 0xffff0000, v118
	s_delay_alu instid0(VALU_DEP_2) | instskip(NEXT) | instid1(VALU_DEP_1)
	v_fmac_f32_e32 v122, v26, v107
	v_dual_fmac_f32 v122, v27, v106 :: v_dual_lshlrev_b32 v107, 16, v119
	v_and_b32_e32 v106, 0xffff0000, v119
	s_delay_alu instid0(VALU_DEP_2) | instskip(NEXT) | instid1(VALU_DEP_1)
	v_dual_fmac_f32 v122, v28, v107 :: v_dual_lshlrev_b32 v107, 16, v120
	v_fmac_f32_e32 v122, v29, v106
	v_and_b32_e32 v106, 0xffff0000, v120
	s_delay_alu instid0(VALU_DEP_2) | instskip(NEXT) | instid1(VALU_DEP_1)
	v_dual_fmac_f32 v122, v30, v107 :: v_dual_and_b32 v107, 0xffff0000, v121
	v_fmac_f32_e32 v122, v31, v106
	v_lshlrev_b32_e32 v106, 16, v121
	s_delay_alu instid0(VALU_DEP_1) | instskip(NEXT) | instid1(VALU_DEP_1)
	v_fmac_f32_e32 v122, v32, v106
	v_fmac_f32_e32 v122, v58, v107
	ds_bpermute_b32 v106, v60, v122
	s_waitcnt lgkmcnt(0)
	v_add_f32_e32 v106, v122, v106
	ds_bpermute_b32 v107, v61, v106
	s_waitcnt lgkmcnt(0)
	v_add_f32_e32 v106, v106, v107
	;; [unrolled: 3-line block ×3, first 2 shown]
	s_cbranch_vccnz .LBB23_16
; %bb.15:                               ;   in Loop: Header=BB23_6 Depth=1
	global_load_u16 v107, v102, s[18:19] offset:8
	s_waitcnt vmcnt(0)
	v_fma_mix_f32 v106, v39, v107, v106 op_sel_hi:[0,1,0]
.LBB23_16:                              ;   in Loop: Header=BB23_6 Depth=1
	v_add_co_u32 v119, vcc_lo, v103, v68
	v_add_co_ci_u32_e32 v120, vcc_lo, v104, v73, vcc_lo
	s_and_not1_b32 vcc_lo, exec_lo, s22
	s_clause 0x3
	global_load_b128 v[107:110], v[119:120], off
	global_load_b128 v[111:114], v[119:120], off offset:128
	global_load_b128 v[115:118], v[119:120], off offset:256
	;; [unrolled: 1-line block ×3, first 2 shown]
	s_waitcnt vmcnt(3)
	v_lshlrev_b32_e32 v123, 16, v107
	v_and_b32_e32 v107, 0xffff0000, v107
	s_delay_alu instid0(VALU_DEP_2) | instskip(NEXT) | instid1(VALU_DEP_1)
	v_fma_f32 v123, v123, v2, 0
	v_dual_fmac_f32 v123, v107, v3 :: v_dual_lshlrev_b32 v124, 16, v108
	v_and_b32_e32 v107, 0xffff0000, v108
	s_delay_alu instid0(VALU_DEP_2) | instskip(NEXT) | instid1(VALU_DEP_1)
	v_dual_fmac_f32 v123, v124, v4 :: v_dual_lshlrev_b32 v108, 16, v109
	v_fmac_f32_e32 v123, v107, v5
	v_and_b32_e32 v107, 0xffff0000, v109
	s_delay_alu instid0(VALU_DEP_2) | instskip(NEXT) | instid1(VALU_DEP_1)
	v_fmac_f32_e32 v123, v108, v6
	v_dual_fmac_f32 v123, v107, v7 :: v_dual_lshlrev_b32 v108, 16, v110
	v_and_b32_e32 v107, 0xffff0000, v110
	s_waitcnt vmcnt(2)
	s_delay_alu instid0(VALU_DEP_2) | instskip(NEXT) | instid1(VALU_DEP_1)
	v_dual_fmac_f32 v123, v108, v8 :: v_dual_lshlrev_b32 v108, 16, v111
	v_fmac_f32_e32 v123, v107, v9
	v_and_b32_e32 v107, 0xffff0000, v111
	s_delay_alu instid0(VALU_DEP_2) | instskip(NEXT) | instid1(VALU_DEP_1)
	v_dual_fmac_f32 v123, v108, v10 :: v_dual_lshlrev_b32 v108, 16, v112
	v_fmac_f32_e32 v123, v107, v11
	v_and_b32_e32 v107, 0xffff0000, v112
	;; [unrolled: 4-line block ×3, first 2 shown]
	s_delay_alu instid0(VALU_DEP_2) | instskip(NEXT) | instid1(VALU_DEP_1)
	v_fmac_f32_e32 v123, v108, v14
	v_dual_fmac_f32 v123, v107, v15 :: v_dual_lshlrev_b32 v108, 16, v114
	v_and_b32_e32 v107, 0xffff0000, v114
	s_waitcnt vmcnt(1)
	s_delay_alu instid0(VALU_DEP_2) | instskip(NEXT) | instid1(VALU_DEP_1)
	v_dual_fmac_f32 v123, v108, v16 :: v_dual_lshlrev_b32 v108, 16, v115
	v_fmac_f32_e32 v123, v107, v17
	v_and_b32_e32 v107, 0xffff0000, v115
	s_delay_alu instid0(VALU_DEP_2) | instskip(NEXT) | instid1(VALU_DEP_1)
	v_dual_fmac_f32 v123, v108, v18 :: v_dual_lshlrev_b32 v108, 16, v116
	v_fmac_f32_e32 v123, v107, v19
	v_and_b32_e32 v107, 0xffff0000, v116
	;; [unrolled: 4-line block ×3, first 2 shown]
	s_delay_alu instid0(VALU_DEP_2) | instskip(NEXT) | instid1(VALU_DEP_1)
	v_fmac_f32_e32 v123, v108, v22
	v_dual_fmac_f32 v123, v107, v23 :: v_dual_lshlrev_b32 v108, 16, v118
	v_and_b32_e32 v107, 0xffff0000, v118
	s_waitcnt vmcnt(0)
	s_delay_alu instid0(VALU_DEP_2) | instskip(NEXT) | instid1(VALU_DEP_1)
	v_dual_fmac_f32 v123, v24, v108 :: v_dual_lshlrev_b32 v108, 16, v119
	v_fmac_f32_e32 v123, v25, v107
	v_and_b32_e32 v107, 0xffff0000, v119
	s_delay_alu instid0(VALU_DEP_2) | instskip(NEXT) | instid1(VALU_DEP_1)
	v_fmac_f32_e32 v123, v26, v108
	v_dual_fmac_f32 v123, v27, v107 :: v_dual_lshlrev_b32 v108, 16, v120
	v_and_b32_e32 v107, 0xffff0000, v120
	s_delay_alu instid0(VALU_DEP_2) | instskip(NEXT) | instid1(VALU_DEP_1)
	v_dual_fmac_f32 v123, v28, v108 :: v_dual_lshlrev_b32 v108, 16, v121
	v_fmac_f32_e32 v123, v29, v107
	v_and_b32_e32 v107, 0xffff0000, v121
	s_delay_alu instid0(VALU_DEP_2) | instskip(NEXT) | instid1(VALU_DEP_1)
	v_dual_fmac_f32 v123, v30, v108 :: v_dual_and_b32 v108, 0xffff0000, v122
	v_fmac_f32_e32 v123, v31, v107
	v_lshlrev_b32_e32 v107, 16, v122
	s_delay_alu instid0(VALU_DEP_1) | instskip(NEXT) | instid1(VALU_DEP_1)
	v_fmac_f32_e32 v123, v32, v107
	v_fmac_f32_e32 v123, v58, v108
	ds_bpermute_b32 v107, v60, v123
	s_waitcnt lgkmcnt(0)
	v_add_f32_e32 v107, v123, v107
	ds_bpermute_b32 v108, v61, v107
	s_waitcnt lgkmcnt(0)
	v_add_f32_e32 v107, v107, v108
	;; [unrolled: 3-line block ×3, first 2 shown]
	s_cbranch_vccnz .LBB23_18
; %bb.17:                               ;   in Loop: Header=BB23_6 Depth=1
	global_load_u16 v108, v102, s[18:19] offset:10
	s_waitcnt vmcnt(0)
	v_fma_mix_f32 v107, v39, v108, v107 op_sel_hi:[0,1,0]
.LBB23_18:                              ;   in Loop: Header=BB23_6 Depth=1
	v_add_co_u32 v120, vcc_lo, v103, v71
	v_add_co_ci_u32_e32 v121, vcc_lo, v104, v75, vcc_lo
	s_and_not1_b32 vcc_lo, exec_lo, s22
	s_clause 0x3
	global_load_b128 v[108:111], v[120:121], off
	global_load_b128 v[112:115], v[120:121], off offset:128
	global_load_b128 v[116:119], v[120:121], off offset:256
	;; [unrolled: 1-line block ×3, first 2 shown]
	s_waitcnt vmcnt(3)
	v_lshlrev_b32_e32 v124, 16, v108
	v_and_b32_e32 v108, 0xffff0000, v108
	s_delay_alu instid0(VALU_DEP_2) | instskip(NEXT) | instid1(VALU_DEP_1)
	v_fma_f32 v124, v124, v2, 0
	v_dual_fmac_f32 v124, v108, v3 :: v_dual_lshlrev_b32 v125, 16, v109
	v_and_b32_e32 v108, 0xffff0000, v109
	s_delay_alu instid0(VALU_DEP_2) | instskip(NEXT) | instid1(VALU_DEP_1)
	v_dual_fmac_f32 v124, v125, v4 :: v_dual_lshlrev_b32 v109, 16, v110
	v_fmac_f32_e32 v124, v108, v5
	v_and_b32_e32 v108, 0xffff0000, v110
	s_delay_alu instid0(VALU_DEP_2) | instskip(NEXT) | instid1(VALU_DEP_1)
	v_dual_fmac_f32 v124, v109, v6 :: v_dual_lshlrev_b32 v109, 16, v111
	v_fmac_f32_e32 v124, v108, v7
	v_and_b32_e32 v108, 0xffff0000, v111
	s_delay_alu instid0(VALU_DEP_2) | instskip(SKIP_1) | instid1(VALU_DEP_1)
	v_fmac_f32_e32 v124, v109, v8
	s_waitcnt vmcnt(2)
	v_dual_fmac_f32 v124, v108, v9 :: v_dual_lshlrev_b32 v109, 16, v112
	v_and_b32_e32 v108, 0xffff0000, v112
	s_delay_alu instid0(VALU_DEP_2) | instskip(NEXT) | instid1(VALU_DEP_1)
	v_dual_fmac_f32 v124, v109, v10 :: v_dual_lshlrev_b32 v109, 16, v113
	v_fmac_f32_e32 v124, v108, v11
	v_and_b32_e32 v108, 0xffff0000, v113
	s_delay_alu instid0(VALU_DEP_2) | instskip(NEXT) | instid1(VALU_DEP_1)
	v_dual_fmac_f32 v124, v109, v12 :: v_dual_lshlrev_b32 v109, 16, v114
	v_fmac_f32_e32 v124, v108, v13
	;; [unrolled: 4-line block ×3, first 2 shown]
	v_and_b32_e32 v108, 0xffff0000, v115
	s_delay_alu instid0(VALU_DEP_2) | instskip(SKIP_1) | instid1(VALU_DEP_1)
	v_fmac_f32_e32 v124, v109, v16
	s_waitcnt vmcnt(1)
	v_dual_fmac_f32 v124, v108, v17 :: v_dual_lshlrev_b32 v109, 16, v116
	v_and_b32_e32 v108, 0xffff0000, v116
	s_delay_alu instid0(VALU_DEP_2) | instskip(NEXT) | instid1(VALU_DEP_1)
	v_dual_fmac_f32 v124, v109, v18 :: v_dual_lshlrev_b32 v109, 16, v117
	v_fmac_f32_e32 v124, v108, v19
	v_and_b32_e32 v108, 0xffff0000, v117
	s_delay_alu instid0(VALU_DEP_2) | instskip(NEXT) | instid1(VALU_DEP_1)
	v_dual_fmac_f32 v124, v109, v20 :: v_dual_lshlrev_b32 v109, 16, v118
	v_fmac_f32_e32 v124, v108, v21
	;; [unrolled: 4-line block ×3, first 2 shown]
	v_and_b32_e32 v108, 0xffff0000, v119
	s_waitcnt vmcnt(0)
	s_delay_alu instid0(VALU_DEP_2) | instskip(NEXT) | instid1(VALU_DEP_1)
	v_dual_fmac_f32 v124, v24, v109 :: v_dual_lshlrev_b32 v109, 16, v120
	v_fmac_f32_e32 v124, v25, v108
	v_and_b32_e32 v108, 0xffff0000, v120
	s_delay_alu instid0(VALU_DEP_2) | instskip(NEXT) | instid1(VALU_DEP_1)
	v_fmac_f32_e32 v124, v26, v109
	v_dual_fmac_f32 v124, v27, v108 :: v_dual_lshlrev_b32 v109, 16, v121
	v_and_b32_e32 v108, 0xffff0000, v121
	s_delay_alu instid0(VALU_DEP_2) | instskip(NEXT) | instid1(VALU_DEP_1)
	v_dual_fmac_f32 v124, v28, v109 :: v_dual_lshlrev_b32 v109, 16, v122
	v_fmac_f32_e32 v124, v29, v108
	v_and_b32_e32 v108, 0xffff0000, v122
	s_delay_alu instid0(VALU_DEP_2) | instskip(NEXT) | instid1(VALU_DEP_1)
	v_dual_fmac_f32 v124, v30, v109 :: v_dual_and_b32 v109, 0xffff0000, v123
	v_fmac_f32_e32 v124, v31, v108
	v_lshlrev_b32_e32 v108, 16, v123
	s_delay_alu instid0(VALU_DEP_1) | instskip(NEXT) | instid1(VALU_DEP_1)
	v_fmac_f32_e32 v124, v32, v108
	v_fmac_f32_e32 v124, v58, v109
	ds_bpermute_b32 v108, v60, v124
	s_waitcnt lgkmcnt(0)
	v_add_f32_e32 v108, v124, v108
	ds_bpermute_b32 v109, v61, v108
	s_waitcnt lgkmcnt(0)
	v_add_f32_e32 v108, v108, v109
	;; [unrolled: 3-line block ×3, first 2 shown]
	s_cbranch_vccnz .LBB23_20
; %bb.19:                               ;   in Loop: Header=BB23_6 Depth=1
	global_load_u16 v109, v102, s[18:19] offset:12
	s_waitcnt vmcnt(0)
	v_fma_mix_f32 v108, v39, v109, v108 op_sel_hi:[0,1,0]
.LBB23_20:                              ;   in Loop: Header=BB23_6 Depth=1
	v_add_co_u32 v103, vcc_lo, v103, v74
	v_add_co_ci_u32_e32 v104, vcc_lo, v104, v76, vcc_lo
	s_and_not1_b32 vcc_lo, exec_lo, s22
	s_clause 0x3
	global_load_b128 v[109:112], v[103:104], off
	global_load_b128 v[113:116], v[103:104], off offset:128
	global_load_b128 v[117:120], v[103:104], off offset:256
	;; [unrolled: 1-line block ×3, first 2 shown]
	s_waitcnt vmcnt(3)
	v_lshlrev_b32_e32 v103, 16, v109
	v_and_b32_e32 v104, 0xffff0000, v109
	v_lshlrev_b32_e32 v109, 16, v110
	s_delay_alu instid0(VALU_DEP_3) | instskip(NEXT) | instid1(VALU_DEP_1)
	v_fma_f32 v103, v103, v2, 0
	v_dual_fmac_f32 v103, v104, v3 :: v_dual_and_b32 v104, 0xffff0000, v110
	s_delay_alu instid0(VALU_DEP_1) | instskip(SKIP_1) | instid1(VALU_DEP_2)
	v_fmac_f32_e32 v103, v109, v4
	v_lshlrev_b32_e32 v109, 16, v111
	v_dual_fmac_f32 v103, v104, v5 :: v_dual_and_b32 v104, 0xffff0000, v111
	s_delay_alu instid0(VALU_DEP_1) | instskip(SKIP_1) | instid1(VALU_DEP_2)
	v_fmac_f32_e32 v103, v109, v6
	v_lshlrev_b32_e32 v109, 16, v112
	v_dual_fmac_f32 v103, v104, v7 :: v_dual_and_b32 v104, 0xffff0000, v112
	s_delay_alu instid0(VALU_DEP_1) | instskip(SKIP_2) | instid1(VALU_DEP_2)
	v_fmac_f32_e32 v103, v109, v8
	s_waitcnt vmcnt(2)
	v_lshlrev_b32_e32 v109, 16, v113
	v_fmac_f32_e32 v103, v104, v9
	s_delay_alu instid0(VALU_DEP_1) | instskip(SKIP_1) | instid1(VALU_DEP_2)
	v_dual_fmac_f32 v103, v109, v10 :: v_dual_and_b32 v104, 0xffff0000, v113
	v_lshlrev_b32_e32 v109, 16, v114
	v_dual_fmac_f32 v103, v104, v11 :: v_dual_and_b32 v104, 0xffff0000, v114
	s_delay_alu instid0(VALU_DEP_1) | instskip(SKIP_1) | instid1(VALU_DEP_2)
	v_fmac_f32_e32 v103, v109, v12
	v_lshlrev_b32_e32 v109, 16, v115
	v_dual_fmac_f32 v103, v104, v13 :: v_dual_and_b32 v104, 0xffff0000, v115
	s_delay_alu instid0(VALU_DEP_1) | instskip(SKIP_1) | instid1(VALU_DEP_2)
	v_fmac_f32_e32 v103, v109, v14
	v_lshlrev_b32_e32 v109, 16, v116
	v_dual_fmac_f32 v103, v104, v15 :: v_dual_and_b32 v104, 0xffff0000, v116
	s_delay_alu instid0(VALU_DEP_1) | instskip(SKIP_2) | instid1(VALU_DEP_2)
	v_fmac_f32_e32 v103, v109, v16
	s_waitcnt vmcnt(1)
	v_lshlrev_b32_e32 v109, 16, v117
	v_fmac_f32_e32 v103, v104, v17
	s_delay_alu instid0(VALU_DEP_1) | instskip(SKIP_1) | instid1(VALU_DEP_2)
	v_dual_fmac_f32 v103, v109, v18 :: v_dual_and_b32 v104, 0xffff0000, v117
	v_lshlrev_b32_e32 v109, 16, v118
	;; [unrolled: 17-line block ×3, first 2 shown]
	v_dual_fmac_f32 v103, v104, v27 :: v_dual_and_b32 v104, 0xffff0000, v122
	s_delay_alu instid0(VALU_DEP_1) | instskip(SKIP_1) | instid1(VALU_DEP_2)
	v_fmac_f32_e32 v103, v109, v28
	v_lshlrev_b32_e32 v109, 16, v123
	v_dual_fmac_f32 v103, v104, v29 :: v_dual_and_b32 v104, 0xffff0000, v123
	s_delay_alu instid0(VALU_DEP_1) | instskip(SKIP_1) | instid1(VALU_DEP_2)
	v_fmac_f32_e32 v103, v109, v30
	v_and_b32_e32 v109, 0xffff0000, v124
	v_dual_fmac_f32 v103, v104, v31 :: v_dual_lshlrev_b32 v104, 16, v124
	s_delay_alu instid0(VALU_DEP_1) | instskip(NEXT) | instid1(VALU_DEP_1)
	v_fmac_f32_e32 v103, v104, v32
	v_fmac_f32_e32 v103, v109, v58
	ds_bpermute_b32 v104, v60, v103
	s_waitcnt lgkmcnt(0)
	v_add_f32_e32 v103, v103, v104
	ds_bpermute_b32 v104, v61, v103
	s_waitcnt lgkmcnt(0)
	v_add_f32_e32 v103, v103, v104
	ds_bpermute_b32 v104, v62, v103
	s_waitcnt lgkmcnt(0)
	v_add_f32_e32 v103, v103, v104
	s_cbranch_vccnz .LBB23_22
; %bb.21:                               ;   in Loop: Header=BB23_6 Depth=1
	global_load_u16 v102, v102, s[18:19] offset:14
	s_waitcnt vmcnt(0)
	v_fma_mix_f32 v103, v39, v102, v103 op_sel_hi:[0,1,0]
.LBB23_22:                              ;   in Loop: Header=BB23_6 Depth=1
	v_add_co_u32 v102, vcc_lo, s15, v80
	v_add_co_ci_u32_e32 v104, vcc_lo, s17, v88, vcc_lo
	v_add_f32_e32 v238, 0x40051340, v105
	s_delay_alu instid0(VALU_DEP_3) | instskip(NEXT) | instid1(VALU_DEP_3)
	v_add_co_u32 v121, vcc_lo, v102, v96
	v_add_co_ci_u32_e32 v122, vcc_lo, 0, v104, vcc_lo
	v_add_co_u32 v102, vcc_lo, s15, v81
	v_add_co_ci_u32_e32 v104, vcc_lo, s17, v89, vcc_lo
	s_clause 0x3
	global_load_b128 v[109:112], v[121:122], off
	global_load_b128 v[113:116], v[121:122], off offset:128
	global_load_b128 v[117:120], v[121:122], off offset:256
	;; [unrolled: 1-line block ×3, first 2 shown]
	v_add_co_u32 v137, vcc_lo, v102, v96
	v_add_co_ci_u32_e32 v138, vcc_lo, 0, v104, vcc_lo
	v_add_co_u32 v102, vcc_lo, s15, v82
	v_add_co_ci_u32_e32 v104, vcc_lo, s17, v90, vcc_lo
	s_clause 0x1
	global_load_b128 v[125:128], v[137:138], off
	global_load_b128 v[129:132], v[137:138], off offset:128
	v_add_co_u32 v153, vcc_lo, v102, v96
	v_add_co_ci_u32_e32 v154, vcc_lo, 0, v104, vcc_lo
	v_add_co_u32 v102, vcc_lo, s15, v83
	v_add_co_ci_u32_e32 v104, vcc_lo, s17, v91, vcc_lo
	global_load_b128 v[133:136], v[137:138], off offset:256
	v_add_co_u32 v169, vcc_lo, v102, v96
	v_add_co_ci_u32_e32 v170, vcc_lo, 0, v104, vcc_lo
	v_add_co_u32 v102, vcc_lo, s15, v84
	v_add_co_ci_u32_e32 v104, vcc_lo, s17, v92, vcc_lo
	s_clause 0x2
	global_load_b128 v[137:140], v[137:138], off offset:384
	global_load_b128 v[141:144], v[153:154], off
	global_load_b128 v[145:148], v[153:154], off offset:128
	v_add_co_u32 v185, vcc_lo, v102, v96
	v_add_co_ci_u32_e32 v186, vcc_lo, 0, v104, vcc_lo
	v_add_co_u32 v102, vcc_lo, s15, v85
	v_add_co_ci_u32_e32 v104, vcc_lo, s17, v93, vcc_lo
	s_clause 0x3
	global_load_b128 v[149:152], v[153:154], off offset:256
	global_load_b128 v[153:156], v[153:154], off offset:384
	global_load_b128 v[157:160], v[169:170], off
	global_load_b128 v[161:164], v[169:170], off offset:128
	v_add_co_u32 v201, vcc_lo, v102, v96
	v_add_co_ci_u32_e32 v202, vcc_lo, 0, v104, vcc_lo
	global_load_b128 v[165:168], v[169:170], off offset:256
	v_add_co_u32 v102, vcc_lo, s15, v86
	s_clause 0x2
	global_load_b128 v[169:172], v[169:170], off offset:384
	global_load_b128 v[173:176], v[185:186], off
	global_load_b128 v[177:180], v[185:186], off offset:128
	v_add_co_ci_u32_e32 v104, vcc_lo, s17, v94, vcc_lo
	global_load_b128 v[181:184], v[185:186], off offset:256
	v_add_co_u32 v217, vcc_lo, v102, v96
	s_clause 0x2
	global_load_b128 v[185:188], v[185:186], off offset:384
	global_load_b128 v[189:192], v[201:202], off
	global_load_b128 v[193:196], v[201:202], off offset:128
	v_add_co_ci_u32_e32 v218, vcc_lo, 0, v104, vcc_lo
	v_add_co_u32 v102, vcc_lo, s15, v87
	global_load_b128 v[197:200], v[201:202], off offset:256
	v_add_co_ci_u32_e32 v104, vcc_lo, s17, v95, vcc_lo
	s_clause 0x2
	global_load_b128 v[201:204], v[201:202], off offset:384
	global_load_b128 v[205:208], v[217:218], off
	global_load_b128 v[209:212], v[217:218], off offset:128
	v_add_co_u32 v233, vcc_lo, v102, v96
	global_load_b128 v[213:216], v[217:218], off offset:256
	v_add_co_ci_u32_e32 v234, vcc_lo, 0, v104, vcc_lo
	s_clause 0x4
	global_load_b128 v[217:220], v[217:218], off offset:384
	global_load_b128 v[221:224], v[233:234], off
	global_load_b128 v[225:228], v[233:234], off offset:128
	global_load_b128 v[229:232], v[233:234], off offset:256
	;; [unrolled: 1-line block ×3, first 2 shown]
	v_dual_add_f32 v102, 0x40051340, v99 :: v_dual_add_f32 v237, 0x40051340, v101
	v_dual_add_f32 v104, 0x40051340, v100 :: v_dual_add_f32 v239, 0x40051340, v107
	v_cndmask_b32_e64 v97, v97, v99, s3
	s_add_i32 s16, s26, s16
	s_add_u32 s20, s20, s23
	s_delay_alu instid0(VALU_DEP_2)
	v_max3_f32 v102, v98, v102, v104
	v_add_f32_e32 v104, 0x40051340, v106
	v_cndmask_b32_e64 v97, v97, v100, s4
	s_addc_u32 s21, s21, 0
	s_add_u32 s15, s15, s33
	v_max3_f32 v102, v102, v237, v238
	v_dual_add_f32 v237, 0x40051340, v108 :: v_dual_add_f32 v238, 0x40051340, v103
	v_cndmask_b32_e64 v97, v97, v101, s5
	s_addc_u32 s17, s17, 0
	s_delay_alu instid0(VALU_DEP_3) | instskip(SKIP_1) | instid1(VALU_DEP_2)
	v_max3_f32 v102, v102, v104, v239
	s_lshl_b64 s[10:11], s[26:27], 1
	v_cndmask_b32_e64 v97, v97, v105, s6
	s_add_u32 s18, s18, s10
	s_delay_alu instid0(VALU_DEP_2)
	v_max3_f32 v102, v102, v237, v238
	s_addc_u32 s19, s19, s11
	s_cmp_ge_i32 s16, s38
	v_cndmask_b32_e64 v97, v97, v106, s7
	ds_bpermute_b32 v104, v77, v102
	v_cndmask_b32_e64 v97, v97, v107, s8
	s_delay_alu instid0(VALU_DEP_1) | instskip(NEXT) | instid1(VALU_DEP_1)
	v_cndmask_b32_e64 v97, v97, v108, s9
	v_cndmask_b32_e64 v97, v97, v103, s2
	s_waitcnt lgkmcnt(0)
	v_max_f32_e32 v99, v104, v104
	s_delay_alu instid0(VALU_DEP_1) | instskip(SKIP_3) | instid1(VALU_DEP_1)
	v_max_f32_e32 v99, v102, v99
	ds_bpermute_b32 v100, v78, v99
	s_waitcnt lgkmcnt(0)
	v_max_f32_e32 v100, v100, v100
	v_max_f32_e32 v99, v99, v100
	s_delay_alu instid0(VALU_DEP_1) | instskip(NEXT) | instid1(VALU_DEP_1)
	v_sub_f32_e32 v97, v97, v99
	v_mul_f32_e32 v100, 0x3fb8aa3b, v97
	v_sub_f32_e32 v98, v98, v99
	v_cmp_ngt_f32_e32 vcc_lo, 0xc2ce8ed0, v97
	s_delay_alu instid0(VALU_DEP_3) | instskip(SKIP_1) | instid1(VALU_DEP_1)
	v_fma_f32 v101, 0x3fb8aa3b, v97, -v100
	v_rndne_f32_e32 v102, v100
	v_dual_fmac_f32 v101, 0x32a5705f, v97 :: v_dual_sub_f32 v100, v100, v102
	v_cvt_i32_f32_e32 v102, v102
	s_delay_alu instid0(VALU_DEP_2) | instskip(NEXT) | instid1(VALU_DEP_1)
	v_dual_add_f32 v100, v100, v101 :: v_dual_mul_f32 v101, 0x3fb8aa3b, v98
	v_exp_f32_e32 v100, v100
	s_delay_alu instid0(VALU_DEP_1) | instskip(SKIP_1) | instid1(VALU_DEP_1)
	v_fma_f32 v103, 0x3fb8aa3b, v98, -v101
	v_rndne_f32_e32 v104, v101
	v_sub_f32_e32 v101, v101, v104
	s_waitcnt_depctr 0xfff
	v_ldexp_f32 v100, v100, v102
	s_delay_alu instid0(VALU_DEP_1) | instskip(SKIP_1) | instid1(VALU_DEP_2)
	v_dual_fmac_f32 v103, 0x32a5705f, v98 :: v_dual_cndmask_b32 v100, 0, v100
	v_cmp_nlt_f32_e32 vcc_lo, 0x42b17218, v97
	v_cndmask_b32_e32 v97, 0x7f800000, v100, vcc_lo
	v_cmp_ngt_f32_e32 vcc_lo, 0xc2ce8ed0, v98
	s_delay_alu instid0(VALU_DEP_4) | instskip(SKIP_1) | instid1(VALU_DEP_4)
	v_add_f32_e32 v101, v101, v103
	v_cvt_i32_f32_e32 v100, v104
	v_cvt_f16_f32_e32 v102, v97
	s_delay_alu instid0(VALU_DEP_3)
	v_exp_f32_e32 v101, v101
	ds_store_b16 v34, v102
	v_ldexp_f32 v100, v101, v100
	ds_load_u16 v101, v79
	v_cndmask_b32_e32 v100, 0, v100, vcc_lo
	v_cmp_nlt_f32_e32 vcc_lo, 0x42b17218, v98
	s_delay_alu instid0(VALU_DEP_2) | instskip(NEXT) | instid1(VALU_DEP_1)
	v_cndmask_b32_e32 v98, 0x7f800000, v100, vcc_lo
	v_cvt_f16_f32_e32 v100, v98
	v_fma_f32 v41, v41, v98, v97
	ds_load_u16 v98, v79 offset:8
	ds_load_u16 v102, v79 offset:16
	;; [unrolled: 1-line block ×7, first 2 shown]
	s_waitcnt vmcnt(31) lgkmcnt(7)
	v_pk_mul_f16 v108, v101, v109 op_sel_hi:[0,1]
	v_pk_mul_f16 v109, v101, v110 op_sel_hi:[0,1]
	v_pk_mul_f16 v110, v101, v111 op_sel_hi:[0,1]
	v_pk_mul_f16 v111, v101, v112 op_sel_hi:[0,1]
	s_waitcnt vmcnt(30)
	v_pk_mul_f16 v112, v101, v113 op_sel_hi:[0,1]
	v_pk_mul_f16 v113, v101, v114 op_sel_hi:[0,1]
	v_pk_mul_f16 v114, v101, v115 op_sel_hi:[0,1]
	v_pk_mul_f16 v115, v101, v116 op_sel_hi:[0,1]
	s_waitcnt vmcnt(29)
	;; [unrolled: 5-line block ×3, first 2 shown]
	v_pk_mul_f16 v120, v101, v121 op_sel_hi:[0,1]
	v_pk_mul_f16 v121, v101, v122 op_sel_hi:[0,1]
	;; [unrolled: 1-line block ×4, first 2 shown]
	v_pk_fma_f16 v52, v100, v52, v108 op_sel_hi:[0,1,1]
	v_pk_fma_f16 v56, v100, v56, v109 op_sel_hi:[0,1,1]
	;; [unrolled: 1-line block ×16, first 2 shown]
	s_waitcnt vmcnt(27) lgkmcnt(6)
	v_pk_fma_f16 v52, v98, v125, v52 op_sel_hi:[0,1,1]
	v_pk_fma_f16 v56, v98, v126, v56 op_sel_hi:[0,1,1]
	v_pk_fma_f16 v55, v98, v127, v55 op_sel_hi:[0,1,1]
	v_pk_fma_f16 v54, v98, v128, v54 op_sel_hi:[0,1,1]
	s_waitcnt vmcnt(26)
	v_pk_fma_f16 v53, v98, v129, v53 op_sel_hi:[0,1,1]
	v_pk_fma_f16 v51, v98, v130, v51 op_sel_hi:[0,1,1]
	v_pk_fma_f16 v50, v98, v131, v50 op_sel_hi:[0,1,1]
	v_pk_fma_f16 v49, v98, v132, v49 op_sel_hi:[0,1,1]
	s_waitcnt vmcnt(25)
	v_pk_fma_f16 v48, v98, v133, v48 op_sel_hi:[0,1,1]
	v_pk_fma_f16 v47, v98, v134, v47 op_sel_hi:[0,1,1]
	v_pk_fma_f16 v46, v98, v135, v46 op_sel_hi:[0,1,1]
	v_pk_fma_f16 v45, v98, v136, v45 op_sel_hi:[0,1,1]
	s_waitcnt vmcnt(24)
	v_pk_fma_f16 v44, v98, v137, v44 op_sel_hi:[0,1,1]
	v_pk_fma_f16 v43, v98, v138, v43 op_sel_hi:[0,1,1]
	v_pk_fma_f16 v42, v98, v139, v42 op_sel_hi:[0,1,1]
	v_pk_fma_f16 v40, v98, v140, v40 op_sel_hi:[0,1,1]
	s_waitcnt vmcnt(23) lgkmcnt(5)
	v_pk_fma_f16 v52, v102, v141, v52 op_sel_hi:[0,1,1]
	v_pk_fma_f16 v56, v102, v142, v56 op_sel_hi:[0,1,1]
	v_pk_fma_f16 v55, v102, v143, v55 op_sel_hi:[0,1,1]
	v_pk_fma_f16 v54, v102, v144, v54 op_sel_hi:[0,1,1]
	s_waitcnt vmcnt(22)
	v_pk_fma_f16 v53, v102, v145, v53 op_sel_hi:[0,1,1]
	v_pk_fma_f16 v51, v102, v146, v51 op_sel_hi:[0,1,1]
	v_pk_fma_f16 v50, v102, v147, v50 op_sel_hi:[0,1,1]
	v_pk_fma_f16 v49, v102, v148, v49 op_sel_hi:[0,1,1]
	s_waitcnt vmcnt(21)
	v_pk_fma_f16 v48, v102, v149, v48 op_sel_hi:[0,1,1]
	v_pk_fma_f16 v47, v102, v150, v47 op_sel_hi:[0,1,1]
	v_pk_fma_f16 v46, v102, v151, v46 op_sel_hi:[0,1,1]
	v_pk_fma_f16 v45, v102, v152, v45 op_sel_hi:[0,1,1]
	s_waitcnt vmcnt(20)
	v_pk_fma_f16 v44, v102, v153, v44 op_sel_hi:[0,1,1]
	v_pk_fma_f16 v43, v102, v154, v43 op_sel_hi:[0,1,1]
	v_pk_fma_f16 v42, v102, v155, v42 op_sel_hi:[0,1,1]
	v_pk_fma_f16 v40, v102, v156, v40 op_sel_hi:[0,1,1]
	;; [unrolled: 20-line block ×7, first 2 shown]
	s_cbranch_scc1 .LBB23_24
; %bb.23:                               ;   in Loop: Header=BB23_6 Depth=1
	v_mov_b32_e32 v98, v99
	s_branch .LBB23_6
.LBB23_24:
	s_waitcnt vmcnt(1)
	v_or_b32_e32 v1, s14, v38
	s_cmp_lg_u64 s[24:25], 0
	s_cselect_b32 s2, -1, 0
	s_delay_alu instid0(VALU_DEP_1) | instskip(SKIP_1) | instid1(SALU_CYCLE_1)
	v_cmp_eq_u32_e32 vcc_lo, 0, v1
	s_and_b32 s3, vcc_lo, s2
	s_and_saveexec_b32 s2, s3
	s_cbranch_execz .LBB23_26
; %bb.25:
	s_ashr_i32 s37, s36, 31
	v_max_f32_e32 v1, v99, v99
	s_lshl_b64 s[4:5], s[36:37], 2
	s_delay_alu instid0(SALU_CYCLE_1) | instskip(SKIP_4) | instid1(VALU_DEP_1)
	s_add_u32 s4, s24, s4
	s_addc_u32 s5, s25, s5
	s_load_b32 s3, s[4:5], 0x0
	s_waitcnt lgkmcnt(0)
	v_max_f32_e64 v2, s3, s3
	v_max_f32_e32 v1, v2, v1
	s_delay_alu instid0(VALU_DEP_1) | instskip(NEXT) | instid1(VALU_DEP_1)
	v_sub_f32_e32 v2, v99, v1
	v_mul_f32_e32 v4, 0x3fb8aa3b, v2
	s_waitcnt vmcnt(0)
	s_delay_alu instid0(VALU_DEP_1) | instskip(SKIP_1) | instid1(VALU_DEP_2)
	v_fma_f32 v6, 0x3fb8aa3b, v2, -v4
	v_rndne_f32_e32 v7, v4
	v_dual_fmac_f32 v6, 0x32a5705f, v2 :: v_dual_sub_f32 v3, s3, v1
	s_delay_alu instid0(VALU_DEP_2) | instskip(NEXT) | instid1(VALU_DEP_2)
	v_dual_sub_f32 v4, v4, v7 :: v_dual_mov_b32 v99, v1
	v_mul_f32_e32 v5, 0x3fb8aa3b, v3
	v_cmp_ngt_f32_e32 vcc_lo, 0xc2ce8ed0, v2
	s_delay_alu instid0(VALU_DEP_2) | instskip(SKIP_1) | instid1(VALU_DEP_1)
	v_fma_f32 v8, 0x3fb8aa3b, v3, -v5
	v_rndne_f32_e32 v9, v5
	v_dual_fmac_f32 v8, 0x32a5705f, v3 :: v_dual_sub_f32 v5, v5, v9
	v_add_f32_e32 v4, v4, v6
	v_cvt_i32_f32_e32 v6, v7
	v_cvt_i32_f32_e32 v7, v9
	s_delay_alu instid0(VALU_DEP_4) | instskip(NEXT) | instid1(VALU_DEP_4)
	v_add_f32_e32 v5, v5, v8
	v_exp_f32_e32 v4, v4
	s_delay_alu instid0(VALU_DEP_1) | instskip(SKIP_3) | instid1(VALU_DEP_2)
	v_exp_f32_e32 v5, v5
	s_waitcnt_depctr 0xfff
	v_ldexp_f32 v4, v4, v6
	v_ldexp_f32 v5, v5, v7
	v_cndmask_b32_e32 v4, 0, v4, vcc_lo
	v_cmp_ngt_f32_e32 vcc_lo, 0xc2ce8ed0, v3
	s_delay_alu instid0(VALU_DEP_3) | instskip(SKIP_1) | instid1(VALU_DEP_4)
	v_cndmask_b32_e32 v5, 0, v5, vcc_lo
	v_cmp_nlt_f32_e32 vcc_lo, 0x42b17218, v2
	v_cndmask_b32_e32 v2, 0x7f800000, v4, vcc_lo
	v_cmp_nlt_f32_e32 vcc_lo, 0x42b17218, v3
	s_delay_alu instid0(VALU_DEP_4) | instskip(SKIP_1) | instid1(VALU_DEP_2)
	v_cndmask_b32_e32 v3, 0x7f800000, v5, vcc_lo
	v_cmp_eq_u32_e32 vcc_lo, 0, v37
	v_cndmask_b32_e32 v3, 0, v3, vcc_lo
	s_delay_alu instid0(VALU_DEP_1) | instskip(NEXT) | instid1(VALU_DEP_1)
	v_fmac_f32_e32 v3, v41, v2
	v_mov_b32_e32 v41, v3
	v_cvt_f16_f32_e32 v4, v2
	s_delay_alu instid0(VALU_DEP_1)
	v_pk_mul_f16 v52, v4, v52 op_sel_hi:[0,1]
	v_pk_mul_f16 v56, v4, v56 op_sel_hi:[0,1]
	;; [unrolled: 1-line block ×16, first 2 shown]
.LBB23_26:
	s_or_b32 exec_lo, exec_lo, s2
	s_delay_alu instid0(SALU_CYCLE_1)
	s_mov_b32 s2, exec_lo
	v_cmpx_eq_u32_e32 0, v38
	s_cbranch_execz .LBB23_28
; %bb.27:
	v_dual_mov_b32 v1, 0xfeffffff :: v_dual_mov_b32 v2, 0
	v_add_nc_u32_e32 v3, 0x2000, v35
	ds_store_2addr_b32 v3, v1, v2 offset1:32
.LBB23_28:
	s_or_b32 exec_lo, exec_lo, s2
	v_cmp_eq_u32_e32 vcc_lo, 0, v37
	s_waitcnt vmcnt(0)
	v_lshlrev_b32_e32 v6, 2, v38
	s_waitcnt lgkmcnt(0)
	s_barrier
	buffer_gl0_inv
	s_and_saveexec_b32 s2, vcc_lo
	s_cbranch_execz .LBB23_30
; %bb.29:
	ds_store_b32 v6, v99 offset:8192
.LBB23_30:
	s_or_b32 exec_lo, exec_lo, s2
	s_waitcnt lgkmcnt(0)
	s_barrier
	buffer_gl0_inv
	ds_load_b32 v1, v35 offset:8192
	v_xor_b32_e32 v2, 16, v0
	v_xor_b32_e32 v3, 8, v0
	;; [unrolled: 1-line block ×3, first 2 shown]
	v_lshlrev_b32_e32 v14, 6, v37
	s_delay_alu instid0(VALU_DEP_4) | instskip(NEXT) | instid1(VALU_DEP_2)
	v_cmp_gt_i32_e64 s2, 32, v2
	v_and_b32_e32 v18, 0x1e00, v14
	s_delay_alu instid0(VALU_DEP_2) | instskip(SKIP_1) | instid1(VALU_DEP_3)
	v_cndmask_b32_e64 v2, v0, v2, s2
	v_cmp_gt_i32_e64 s2, 32, v3
	v_lshl_add_u32 v22, v38, 11, v18
	s_delay_alu instid0(VALU_DEP_3) | instskip(NEXT) | instid1(VALU_DEP_3)
	v_lshlrev_b32_e32 v4, 2, v2
	v_cndmask_b32_e64 v3, v0, v3, s2
	s_delay_alu instid0(VALU_DEP_3)
	v_lshl_or_b32 v25, v36, 2, v22
	s_waitcnt lgkmcnt(0)
	ds_bpermute_b32 v2, v4, v1
	v_max_f32_e32 v1, v1, v1
	v_lshlrev_b32_e32 v5, 2, v3
	v_xor_b32_e32 v3, 4, v0
	s_delay_alu instid0(VALU_DEP_1) | instskip(NEXT) | instid1(VALU_DEP_1)
	v_cmp_gt_i32_e64 s2, 32, v3
	v_cndmask_b32_e64 v3, v0, v3, s2
	v_cmp_gt_i32_e64 s2, 32, v7
	s_delay_alu instid0(VALU_DEP_2) | instskip(NEXT) | instid1(VALU_DEP_2)
	v_lshlrev_b32_e32 v3, 2, v3
	v_cndmask_b32_e64 v7, v0, v7, s2
	s_waitcnt lgkmcnt(0)
	v_max_f32_e32 v2, v2, v2
	s_delay_alu instid0(VALU_DEP_1) | instskip(SKIP_3) | instid1(VALU_DEP_1)
	v_max_f32_e32 v1, v1, v2
	ds_bpermute_b32 v2, v5, v1
	s_waitcnt lgkmcnt(0)
	v_max_f32_e32 v2, v2, v2
	v_max_f32_e32 v1, v1, v2
	ds_bpermute_b32 v2, v3, v1
	s_waitcnt lgkmcnt(0)
	v_max_f32_e32 v8, v2, v2
	s_delay_alu instid0(VALU_DEP_1) | instskip(SKIP_3) | instid1(VALU_DEP_1)
	v_dual_max_f32 v7, v1, v8 :: v_dual_lshlrev_b32 v2, 2, v7
	v_xor_b32_e32 v8, 1, v0
	ds_bpermute_b32 v1, v2, v7
	v_cmp_gt_i32_e64 s2, 32, v8
	v_cndmask_b32_e64 v0, v0, v8, s2
	s_waitcnt lgkmcnt(0)
	s_delay_alu instid0(VALU_DEP_1) | instskip(NEXT) | instid1(VALU_DEP_1)
	v_dual_max_f32 v8, v1, v1 :: v_dual_lshlrev_b32 v1, 2, v0
	v_max_f32_e32 v0, v7, v8
	ds_bpermute_b32 v7, v1, v0
	s_waitcnt lgkmcnt(0)
	v_max_f32_e32 v7, v7, v7
	s_delay_alu instid0(VALU_DEP_1) | instskip(NEXT) | instid1(VALU_DEP_1)
	v_max_f32_e32 v0, v0, v7
	v_sub_f32_e32 v7, v99, v0
	s_delay_alu instid0(VALU_DEP_1) | instskip(NEXT) | instid1(VALU_DEP_1)
	v_mul_f32_e32 v8, 0x3fb8aa3b, v7
	v_fma_f32 v9, 0x3fb8aa3b, v7, -v8
	v_rndne_f32_e32 v10, v8
	s_delay_alu instid0(VALU_DEP_1) | instskip(NEXT) | instid1(VALU_DEP_1)
	v_dual_fmamk_f32 v9, v7, 0x32a5705f, v9 :: v_dual_sub_f32 v8, v8, v10
	v_add_f32_e32 v8, v8, v9
	v_cvt_i32_f32_e32 v9, v10
	v_cmp_ngt_f32_e64 s2, 0xc2ce8ed0, v7
	s_delay_alu instid0(VALU_DEP_3) | instskip(SKIP_2) | instid1(VALU_DEP_1)
	v_exp_f32_e32 v8, v8
	s_waitcnt_depctr 0xfff
	v_ldexp_f32 v8, v8, v9
	v_cndmask_b32_e64 v8, 0, v8, s2
	v_cmp_nlt_f32_e64 s2, 0x42b17218, v7
	s_delay_alu instid0(VALU_DEP_1) | instskip(NEXT) | instid1(VALU_DEP_1)
	v_cndmask_b32_e64 v7, 0x7f800000, v8, s2
	v_mul_f32_e32 v8, v41, v7
	v_cvt_f16_f32_e32 v24, v7
	ds_bpermute_b32 v8, v4, v8
	v_pk_mul_f16 v10, v24, v56 op_sel_hi:[0,1]
	v_pk_mul_f16 v12, v24, v54 op_sel_hi:[0,1]
	;; [unrolled: 1-line block ×13, first 2 shown]
	s_waitcnt lgkmcnt(0)
	v_fmac_f32_e32 v8, v41, v7
	ds_bpermute_b32 v9, v5, v8
	s_waitcnt lgkmcnt(0)
	v_add_f32_e32 v8, v8, v9
	ds_bpermute_b32 v9, v3, v8
	s_waitcnt lgkmcnt(0)
	v_add_f32_e32 v8, v8, v9
	v_pk_mul_f16 v9, v24, v52 op_sel_hi:[0,1]
	ds_bpermute_b32 v11, v2, v8
	s_waitcnt lgkmcnt(0)
	v_add_f32_e32 v7, v8, v11
	v_pk_mul_f16 v11, v24, v55 op_sel_hi:[0,1]
	v_pk_mul_f16 v24, v24, v40 op_sel_hi:[0,1]
	ds_store_b128 v25, v[9:12]
	ds_store_b128 v25, v[13:16] offset:128
	ds_store_b128 v25, v[17:20] offset:256
	;; [unrolled: 1-line block ×3, first 2 shown]
	ds_bpermute_b32 v8, v1, v7
	s_and_saveexec_b32 s2, vcc_lo
	s_cbranch_execz .LBB23_32
; %bb.31:
	s_waitcnt lgkmcnt(0)
	v_add_f32_e32 v7, v7, v8
	ds_store_b32 v6, v7 offset:8320
.LBB23_32:
	s_or_b32 exec_lo, exec_lo, s2
	s_waitcnt lgkmcnt(0)
	s_barrier
	buffer_gl0_inv
	ds_load_b32 v6, v35 offset:8320
	ds_load_u16 v7, v34
	ds_load_u16 v8, v34 offset:1280
	ds_load_u16 v9, v34 offset:768
	;; [unrolled: 1-line block ×3, first 2 shown]
	s_mul_i32 s2, s12, s34
	s_waitcnt lgkmcnt(4)
	ds_bpermute_b32 v4, v4, v6
	s_waitcnt lgkmcnt(4)
	v_cvt_f32_f16_e32 v7, v7
	s_waitcnt lgkmcnt(3)
	v_cvt_f32_f16_e32 v8, v8
	;; [unrolled: 2-line block ×4, first 2 shown]
	s_delay_alu instid0(VALU_DEP_1)
	v_dual_add_f32 v7, 0, v7 :: v_dual_add_f32 v10, 0, v10
	s_waitcnt lgkmcnt(0)
	v_add_f32_e32 v4, v6, v4
	ds_load_u16 v6, v34 offset:512
	ds_load_u16 v11, v34 offset:1024
	;; [unrolled: 1-line block ×16, first 2 shown]
	ds_bpermute_b32 v5, v5, v4
	s_waitcnt lgkmcnt(14)
	v_cvt_f32_f16_e32 v12, v12
	s_waitcnt lgkmcnt(13)
	v_cvt_f32_f16_e32 v13, v13
	v_cvt_f32_f16_e32 v6, v6
	s_waitcnt lgkmcnt(7)
	v_cvt_f32_f16_e32 v19, v19
	s_waitcnt lgkmcnt(0)
	v_add_f32_e32 v4, v4, v5
	v_cvt_f32_f16_e32 v5, v11
	v_add_f32_e32 v6, v7, v6
	ds_load_u16 v7, v34 offset:4608
	ds_load_u16 v11, v34 offset:4352
	v_add_f32_e32 v5, v6, v5
	ds_load_u16 v6, v34 offset:4096
	ds_load_u16 v26, v34 offset:3840
	v_add_f32_e32 v5, v5, v12
	ds_bpermute_b32 v3, v3, v4
	ds_load_u16 v12, v34 offset:7680
	ds_load_u16 v27, v34 offset:7424
	v_add_f32_e32 v5, v5, v13
	ds_load_u16 v13, v34 offset:7168
	ds_load_u16 v28, v34 offset:6912
	s_load_b32 s3, s[0:1], 0xd4
	s_waitcnt lgkmcnt(0)
	v_cvt_f32_f16_e32 v7, v7
	v_cvt_f32_f16_e32 v6, v6
	v_add_f32_e32 v3, v4, v3
	v_cvt_f32_f16_e32 v4, v21
	v_add_f32_e32 v9, v10, v9
	v_cvt_f32_f16_e32 v10, v17
	s_cmp_eq_u32 s3, 1
	s_delay_alu instid0(VALU_DEP_2)
	v_add_f32_e32 v8, v9, v8
	ds_bpermute_b32 v2, v2, v3
	v_cvt_f32_f16_e32 v9, v15
	v_cvt_f32_f16_e32 v15, v26
	s_cselect_b32 s1, -1, 0
	v_dual_add_f32 v4, v8, v4 :: v_dual_add_f32 v5, v5, v19
	v_cvt_f32_f16_e32 v8, v18
	s_add_i32 s2, s2, s13
	s_delay_alu instid0(SALU_CYCLE_1) | instskip(NEXT) | instid1(VALU_DEP_2)
	s_mul_i32 s2, s2, s35
	v_add_f32_e32 v5, v5, v10
	v_cvt_f32_f16_e32 v10, v20
	s_add_i32 s2, s2, s36
	s_delay_alu instid0(SALU_CYCLE_1) | instskip(NEXT) | instid1(VALU_DEP_1)
	s_mul_i32 s2, s3, s2
	v_add_f32_e32 v4, v4, v10
	v_cvt_f32_f16_e32 v10, v16
	s_add_i32 s2, s2, s14
	s_cmp_lg_u32 s3, 1
	s_mov_b32 s3, 0
	v_dual_add_f32 v4, v4, v8 :: v_dual_add_f32 v5, v5, v9
	ds_load_u16 v9, v34 offset:6656
	s_waitcnt lgkmcnt(1)
	v_add_f32_e32 v2, v3, v2
	v_cvt_f32_f16_e32 v8, v24
	v_add_f32_e32 v4, v4, v10
	v_add_f32_e32 v5, v5, v6
	v_cvt_f32_f16_e32 v3, v11
	ds_bpermute_b32 v1, v1, v2
	ds_load_u16 v6, v34 offset:6400
	v_add_f32_e32 v4, v4, v15
	v_add_f32_e32 v5, v5, v7
	v_cvt_f32_f16_e32 v10, v22
	ds_load_u16 v7, v34 offset:5888
	v_add_f32_e32 v3, v4, v3
	s_waitcnt lgkmcnt(3)
	v_cvt_f32_f16_e32 v4, v9
	v_cvt_f32_f16_e32 v9, v13
	v_add_f32_e32 v5, v5, v8
	v_cvt_f32_f16_e32 v8, v14
	s_waitcnt lgkmcnt(2)
	v_add_f32_e32 v1, v2, v1
	s_delay_alu instid0(VALU_DEP_3)
	v_add_f32_e32 v5, v5, v10
	v_cvt_f32_f16_e32 v2, v28
	v_cvt_f32_f16_e32 v10, v25
	s_waitcnt lgkmcnt(1)
	v_cvt_f32_f16_e32 v6, v6
	s_waitcnt lgkmcnt(0)
	v_cvt_f32_f16_e32 v7, v7
	v_add_f32_e32 v5, v5, v8
	v_cvt_f32_f16_e32 v8, v23
	s_delay_alu instid0(VALU_DEP_2)
	v_add_f32_e32 v4, v5, v4
	ds_load_u16 v5, v34 offset:7936
	v_add_f32_e32 v4, v4, v9
	s_waitcnt lgkmcnt(0)
	v_cvt_f32_f16_e32 v5, v5
	v_add_f32_e32 v3, v3, v10
	s_delay_alu instid0(VALU_DEP_1) | instskip(SKIP_1) | instid1(VALU_DEP_2)
	v_add_f32_e32 v3, v3, v8
	v_cvt_f32_f16_e32 v8, v12
	v_add_f32_e32 v3, v3, v7
	s_delay_alu instid0(VALU_DEP_2) | instskip(NEXT) | instid1(VALU_DEP_2)
	v_add_f32_e32 v7, v4, v8
	v_add_f32_e32 v3, v3, v6
	s_delay_alu instid0(VALU_DEP_2) | instskip(SKIP_2) | instid1(VALU_DEP_4)
	v_div_scale_f32 v4, null, v1, v1, v7
	v_cvt_f32_f16_e32 v6, v27
	v_div_scale_f32 v8, vcc_lo, v7, v1, v7
	v_add_f32_e32 v2, v3, v2
	s_delay_alu instid0(VALU_DEP_4) | instskip(NEXT) | instid1(VALU_DEP_1)
	v_rcp_f32_e32 v3, v4
	v_add_f32_e32 v2, v2, v6
	s_delay_alu instid0(VALU_DEP_1) | instskip(SKIP_3) | instid1(VALU_DEP_2)
	v_add_f32_e32 v6, v2, v5
	s_waitcnt_depctr 0xfff
	v_fma_f32 v2, -v4, v3, 1.0
	v_div_scale_f32 v5, null, v1, v1, v6
	v_fmac_f32_e32 v3, v2, v3
	s_delay_alu instid0(VALU_DEP_2) | instskip(NEXT) | instid1(VALU_DEP_1)
	v_rcp_f32_e32 v9, v5
	v_mul_f32_e32 v2, v8, v3
	s_delay_alu instid0(VALU_DEP_1) | instskip(SKIP_4) | instid1(VALU_DEP_3)
	v_fma_f32 v10, -v4, v2, v8
	s_waitcnt_depctr 0xfff
	v_fma_f32 v11, -v5, v9, 1.0
	v_fmac_f32_e32 v2, v10, v3
	v_div_scale_f32 v10, s0, v6, v1, v6
	v_fmac_f32_e32 v9, v11, v9
	s_delay_alu instid0(VALU_DEP_3) | instskip(NEXT) | instid1(VALU_DEP_2)
	v_fma_f32 v4, -v4, v2, v8
	v_mul_f32_e32 v8, v10, v9
	s_delay_alu instid0(VALU_DEP_2) | instskip(SKIP_1) | instid1(VALU_DEP_2)
	v_div_fmas_f32 v2, v4, v3, v2
	s_mov_b32 vcc_lo, s0
	v_fma_f32 v3, -v5, v8, v10
	s_delay_alu instid0(VALU_DEP_2) | instskip(SKIP_1) | instid1(VALU_DEP_3)
	v_div_fixup_f32 v11, v2, v1, v7
	v_lshl_or_b32 v2, s2, 8, v33
	v_dual_fmac_f32 v8, v3, v9 :: v_dual_mov_b32 v3, 0
	s_delay_alu instid0(VALU_DEP_3) | instskip(NEXT) | instid1(VALU_DEP_2)
	v_cndmask_b32_e64 v7, v7, v11, s1
	v_fma_f32 v4, -v5, v8, v10
	s_delay_alu instid0(VALU_DEP_1) | instskip(NEXT) | instid1(VALU_DEP_4)
	v_div_fmas_f32 v8, v4, v9, v8
	v_lshlrev_b64 v[4:5], 2, v[2:3]
	v_cmp_eq_u32_e32 vcc_lo, 0, v33
	s_delay_alu instid0(VALU_DEP_3) | instskip(NEXT) | instid1(VALU_DEP_3)
	v_div_fixup_f32 v2, v8, v1, v6
	v_add_co_u32 v4, s0, s28, v4
	s_delay_alu instid0(VALU_DEP_1) | instskip(NEXT) | instid1(VALU_DEP_3)
	v_add_co_ci_u32_e64 v5, s0, s29, v5, s0
	v_cndmask_b32_e64 v2, v6, v2, s1
	s_cselect_b32 s0, -1, 0
	s_clause 0x1
	global_store_b32 v[4:5], v7, off
	global_store_b32 v[4:5], v2, off offset:512
	s_and_b32 s0, vcc_lo, s0
	s_delay_alu instid0(SALU_CYCLE_1)
	s_and_saveexec_b32 s1, s0
	s_cbranch_execz .LBB23_34
; %bb.33:
	s_lshl_b64 s[0:1], s[2:3], 3
	s_delay_alu instid0(SALU_CYCLE_1)
	s_add_u32 s0, s30, s0
	s_addc_u32 s1, s31, s1
	global_store_b64 v3, v[0:1], s[0:1]
.LBB23_34:
	s_nop 0
	s_sendmsg sendmsg(MSG_DEALLOC_VGPRS)
	s_endpgm
	.section	.rodata,"a",@progbits
	.p2align	6, 0x0
	.amdhsa_kernel _ZL18flash_attn_ext_vecILi256ELi1EL9ggml_type30ELS0_1ELb0EEvPKcS2_S2_S2_S2_PKiPfP15HIP_vector_typeIfLj2EEffffjfiS6_IjLj3EEiiiiiiiiiiiliiliiiiil
		.amdhsa_group_segment_fixed_size 8448
		.amdhsa_private_segment_fixed_size 0
		.amdhsa_kernarg_size 464
		.amdhsa_user_sgpr_count 13
		.amdhsa_user_sgpr_dispatch_ptr 0
		.amdhsa_user_sgpr_queue_ptr 0
		.amdhsa_user_sgpr_kernarg_segment_ptr 1
		.amdhsa_user_sgpr_dispatch_id 0
		.amdhsa_user_sgpr_private_segment_size 0
		.amdhsa_wavefront_size32 1
		.amdhsa_uses_dynamic_stack 0
		.amdhsa_enable_private_segment 0
		.amdhsa_system_sgpr_workgroup_id_x 1
		.amdhsa_system_sgpr_workgroup_id_y 1
		.amdhsa_system_sgpr_workgroup_id_z 1
		.amdhsa_system_sgpr_workgroup_info 0
		.amdhsa_system_vgpr_workitem_id 1
		.amdhsa_next_free_vgpr 240
		.amdhsa_next_free_sgpr 44
		.amdhsa_reserve_vcc 1
		.amdhsa_float_round_mode_32 0
		.amdhsa_float_round_mode_16_64 0
		.amdhsa_float_denorm_mode_32 3
		.amdhsa_float_denorm_mode_16_64 3
		.amdhsa_dx10_clamp 1
		.amdhsa_ieee_mode 1
		.amdhsa_fp16_overflow 0
		.amdhsa_workgroup_processor_mode 1
		.amdhsa_memory_ordered 1
		.amdhsa_forward_progress 0
		.amdhsa_shared_vgpr_count 0
		.amdhsa_exception_fp_ieee_invalid_op 0
		.amdhsa_exception_fp_denorm_src 0
		.amdhsa_exception_fp_ieee_div_zero 0
		.amdhsa_exception_fp_ieee_overflow 0
		.amdhsa_exception_fp_ieee_underflow 0
		.amdhsa_exception_fp_ieee_inexact 0
		.amdhsa_exception_int_div_zero 0
	.end_amdhsa_kernel
	.section	.text._ZL18flash_attn_ext_vecILi256ELi1EL9ggml_type30ELS0_1ELb0EEvPKcS2_S2_S2_S2_PKiPfP15HIP_vector_typeIfLj2EEffffjfiS6_IjLj3EEiiiiiiiiiiiliiliiiiil,"axG",@progbits,_ZL18flash_attn_ext_vecILi256ELi1EL9ggml_type30ELS0_1ELb0EEvPKcS2_S2_S2_S2_PKiPfP15HIP_vector_typeIfLj2EEffffjfiS6_IjLj3EEiiiiiiiiiiiliiliiiiil,comdat
.Lfunc_end23:
	.size	_ZL18flash_attn_ext_vecILi256ELi1EL9ggml_type30ELS0_1ELb0EEvPKcS2_S2_S2_S2_PKiPfP15HIP_vector_typeIfLj2EEffffjfiS6_IjLj3EEiiiiiiiiiiiliiliiiiil, .Lfunc_end23-_ZL18flash_attn_ext_vecILi256ELi1EL9ggml_type30ELS0_1ELb0EEvPKcS2_S2_S2_S2_PKiPfP15HIP_vector_typeIfLj2EEffffjfiS6_IjLj3EEiiiiiiiiiiiliiliiiiil
                                        ; -- End function
	.section	.AMDGPU.csdata,"",@progbits
; Kernel info:
; codeLenInByte = 12336
; NumSgprs: 46
; NumVgprs: 240
; ScratchSize: 0
; MemoryBound: 0
; FloatMode: 240
; IeeeMode: 1
; LDSByteSize: 8448 bytes/workgroup (compile time only)
; SGPRBlocks: 5
; VGPRBlocks: 29
; NumSGPRsForWavesPerEU: 46
; NumVGPRsForWavesPerEU: 240
; Occupancy: 6
; WaveLimiterHint : 1
; COMPUTE_PGM_RSRC2:SCRATCH_EN: 0
; COMPUTE_PGM_RSRC2:USER_SGPR: 13
; COMPUTE_PGM_RSRC2:TRAP_HANDLER: 0
; COMPUTE_PGM_RSRC2:TGID_X_EN: 1
; COMPUTE_PGM_RSRC2:TGID_Y_EN: 1
; COMPUTE_PGM_RSRC2:TGID_Z_EN: 1
; COMPUTE_PGM_RSRC2:TIDIG_COMP_CNT: 1
	.section	.text._ZL33flash_attn_stream_k_fixup_uniformILi256ELi1ELi1EEvPfPK15HIP_vector_typeIfLj2EEiiiiiiS1_IjLj3EES5_S5_,"axG",@progbits,_ZL33flash_attn_stream_k_fixup_uniformILi256ELi1ELi1EEvPfPK15HIP_vector_typeIfLj2EEiiiiiiS1_IjLj3EES5_S5_,comdat
	.globl	_ZL33flash_attn_stream_k_fixup_uniformILi256ELi1ELi1EEvPfPK15HIP_vector_typeIfLj2EEiiiiiiS1_IjLj3EES5_S5_ ; -- Begin function _ZL33flash_attn_stream_k_fixup_uniformILi256ELi1ELi1EEvPfPK15HIP_vector_typeIfLj2EEiiiiiiS1_IjLj3EES5_S5_
	.p2align	8
	.type	_ZL33flash_attn_stream_k_fixup_uniformILi256ELi1ELi1EEvPfPK15HIP_vector_typeIfLj2EEiiiiiiS1_IjLj3EES5_S5_,@function
_ZL33flash_attn_stream_k_fixup_uniformILi256ELi1ELi1EEvPfPK15HIP_vector_typeIfLj2EEiiiiiiS1_IjLj3EES5_S5_: ; @_ZL33flash_attn_stream_k_fixup_uniformILi256ELi1ELi1EEvPfPK15HIP_vector_typeIfLj2EEiiiiiiS1_IjLj3EES5_S5_
; %bb.0:
	s_clause 0x1
	s_load_b256 s[4:11], s[0:1], 0x1c
	s_load_b128 s[16:19], s[0:1], 0x3c
	s_waitcnt lgkmcnt(0)
	s_mul_hi_u32 s2, s7, s13
	s_delay_alu instid0(SALU_CYCLE_1) | instskip(NEXT) | instid1(SALU_CYCLE_1)
	s_add_i32 s2, s13, s2
	s_lshr_b32 s7, s2, s8
	s_delay_alu instid0(SALU_CYCLE_1) | instskip(SKIP_2) | instid1(SALU_CYCLE_1)
	s_mul_i32 s2, s7, s9
	s_load_b64 s[8:9], s[0:1], 0x10
	s_sub_i32 s2, s13, s2
	s_mul_hi_u32 s3, s2, s10
	s_delay_alu instid0(SALU_CYCLE_1) | instskip(NEXT) | instid1(SALU_CYCLE_1)
	s_add_i32 s3, s2, s3
	s_lshr_b32 s10, s3, s11
	s_delay_alu instid0(SALU_CYCLE_1) | instskip(NEXT) | instid1(SALU_CYCLE_1)
	s_mul_i32 s3, s10, s16
	s_sub_i32 s2, s2, s3
	s_delay_alu instid0(SALU_CYCLE_1) | instskip(NEXT) | instid1(SALU_CYCLE_1)
	s_mul_hi_u32 s3, s2, s17
	s_add_i32 s3, s2, s3
	s_delay_alu instid0(SALU_CYCLE_1) | instskip(NEXT) | instid1(SALU_CYCLE_1)
	s_lshr_b32 s12, s3, s18
	s_mul_i32 s3, s12, s19
	s_delay_alu instid0(SALU_CYCLE_1) | instskip(NEXT) | instid1(SALU_CYCLE_1)
	s_sub_i32 s11, s2, s3
	s_add_i32 s11, s11, s14
	s_waitcnt lgkmcnt(0)
	s_cmp_lt_i32 s11, s8
	s_cselect_b32 s2, -1, 0
	s_add_i32 s12, s12, s15
	s_delay_alu instid0(SALU_CYCLE_1) | instskip(SKIP_1) | instid1(SALU_CYCLE_1)
	s_cmp_lt_i32 s12, s5
	s_cselect_b32 s3, -1, 0
	s_and_b32 s2, s2, s3
	s_delay_alu instid0(SALU_CYCLE_1)
	s_and_not1_b32 vcc_lo, exec_lo, s2
	s_cbranch_vccnz .LBB24_6
; %bb.1:
	s_mul_i32 s7, s7, s8
	s_mul_i32 s10, s10, s5
	s_add_i32 s5, s11, s7
	s_load_b128 s[0:3], s[0:1], 0x0
	s_add_i32 s7, s12, s10
	s_mul_i32 s5, s5, s9
	s_delay_alu instid0(SALU_CYCLE_1) | instskip(SKIP_4) | instid1(SALU_CYCLE_1)
	s_add_i32 s7, s7, s5
	s_mul_i32 s5, s13, s6
	v_lshl_or_b32 v1, s7, 8, v0
	s_add_i32 s7, s14, s15
	s_add_i32 s6, s5, s6
	;; [unrolled: 1-line block ×3, first 2 shown]
	s_delay_alu instid0(VALU_DEP_1) | instskip(NEXT) | instid1(VALU_DEP_1)
	v_ashrrev_i32_e32 v2, 31, v1
	v_lshlrev_b64 v[1:2], 2, v[1:2]
	s_waitcnt lgkmcnt(0)
	s_delay_alu instid0(VALU_DEP_1) | instskip(NEXT) | instid1(VALU_DEP_2)
	v_add_co_u32 v1, vcc_lo, s0, v1
	v_add_co_ci_u32_e32 v2, vcc_lo, s1, v2, vcc_lo
	s_add_i32 s0, s8, -1
	s_delay_alu instid0(SALU_CYCLE_1) | instskip(SKIP_2) | instid1(SALU_CYCLE_1)
	s_ashr_i32 s1, s0, 31
	global_load_b32 v5, v[1:2], off
	s_lshl_b64 s[0:1], s[0:1], 3
	s_add_u32 s0, s2, s0
	s_addc_u32 s1, s3, s1
	s_add_i32 s10, s6, -2
	s_load_b32 s9, s[0:1], 0x4
	s_cmp_lt_i32 s10, s5
	s_cbranch_scc1 .LBB24_4
; %bb.2:
	s_load_b32 s10, s[0:1], 0x0
	v_lshl_or_b32 v0, s8, 8, v0
	s_lshl_b32 s0, s4, 2
	s_waitcnt lgkmcnt(0)
	v_mov_b32_e32 v6, s9
	s_ashr_i32 s1, s0, 31
	s_delay_alu instid0(SALU_CYCLE_1)
	s_lshl_b64 s[0:1], s[0:1], 2
	v_add_nc_u32_e32 v3, 0xfffffe00, v0
	s_add_u32 s0, s2, s0
	s_addc_u32 s1, s3, s1
	s_add_i32 s6, s6, -1
	s_add_i32 s4, s7, s4
	v_mov_b32_e32 v0, s10
.LBB24_3:                               ; =>This Inner Loop Header: Depth=1
	s_delay_alu instid0(VALU_DEP_2) | instskip(SKIP_1) | instid1(SALU_CYCLE_1)
	v_ashrrev_i32_e32 v4, 31, v3
	s_add_i32 s6, s6, -1
	s_add_i32 s8, s6, s4
	s_delay_alu instid0(SALU_CYCLE_1) | instskip(NEXT) | instid1(VALU_DEP_1)
	s_ashr_i32 s9, s8, 31
	v_lshlrev_b64 v[7:8], 2, v[3:4]
	s_lshl_b64 s[8:9], s[8:9], 3
	s_delay_alu instid0(SALU_CYCLE_1) | instskip(SKIP_2) | instid1(VALU_DEP_1)
	s_add_u32 s8, s2, s8
	s_addc_u32 s9, s3, s9
	s_cmp_le_i32 s6, s5
	v_add_co_u32 v7, vcc_lo, s0, v7
	v_add_co_ci_u32_e32 v8, vcc_lo, s1, v8, vcc_lo
	s_load_b64 s[8:9], s[8:9], 0x0
	global_load_b32 v4, v[7:8], off
	v_max_f32_e32 v7, v0, v0
	s_waitcnt lgkmcnt(0)
	v_max_f32_e64 v8, s8, s8
	s_delay_alu instid0(VALU_DEP_1) | instskip(NEXT) | instid1(VALU_DEP_1)
	v_max_f32_e32 v7, v7, v8
	v_sub_f32_e32 v8, s8, v7
	s_delay_alu instid0(VALU_DEP_1) | instskip(NEXT) | instid1(VALU_DEP_1)
	v_dual_sub_f32 v0, v0, v7 :: v_dual_mul_f32 v9, 0x3fb8aa3b, v8
	v_fma_f32 v10, 0x3fb8aa3b, v8, -v9
	v_rndne_f32_e32 v11, v9
	s_delay_alu instid0(VALU_DEP_3) | instskip(NEXT) | instid1(VALU_DEP_2)
	v_mul_f32_e32 v12, 0x3fb8aa3b, v0
	v_dual_fmac_f32 v10, 0x32a5705f, v8 :: v_dual_sub_f32 v9, v9, v11
	v_cvt_i32_f32_e32 v11, v11
	s_delay_alu instid0(VALU_DEP_3) | instskip(SKIP_1) | instid1(VALU_DEP_4)
	v_fma_f32 v13, 0x3fb8aa3b, v0, -v12
	v_rndne_f32_e32 v14, v12
	v_add_f32_e32 v9, v9, v10
	v_cmp_ngt_f32_e32 vcc_lo, 0xc2ce8ed0, v8
	s_delay_alu instid0(VALU_DEP_3) | instskip(NEXT) | instid1(VALU_DEP_3)
	v_sub_f32_e32 v10, v12, v14
	v_exp_f32_e32 v9, v9
	s_waitcnt_depctr 0xfff
	v_ldexp_f32 v9, v9, v11
	v_cvt_i32_f32_e32 v11, v14
	s_delay_alu instid0(VALU_DEP_2) | instskip(SKIP_1) | instid1(VALU_DEP_2)
	v_cndmask_b32_e32 v9, 0, v9, vcc_lo
	v_cmp_nlt_f32_e32 vcc_lo, 0x42b17218, v8
	v_cndmask_b32_e32 v9, 0x7f800000, v9, vcc_lo
	v_cmp_ngt_f32_e32 vcc_lo, 0xc2ce8ed0, v0
	v_fmac_f32_e32 v13, 0x32a5705f, v0
	s_delay_alu instid0(VALU_DEP_1) | instskip(NEXT) | instid1(VALU_DEP_1)
	v_add_f32_e32 v10, v10, v13
	v_exp_f32_e32 v10, v10
	s_waitcnt_depctr 0xfff
	v_ldexp_f32 v10, v10, v11
	s_delay_alu instid0(VALU_DEP_1)
	v_dual_mov_b32 v11, v6 :: v_dual_cndmask_b32 v10, 0, v10
	v_cmp_le_f32_e32 vcc_lo, 0xc1a00000, v8
	s_waitcnt vmcnt(1)
	v_dual_cndmask_b32 v8, 0, v9 :: v_dual_mov_b32 v9, v5
	v_cmp_nlt_f32_e32 vcc_lo, 0x42b17218, v0
	v_cndmask_b32_e32 v5, 0x7f800000, v10, vcc_lo
	s_delay_alu instid0(VALU_DEP_3) | instskip(SKIP_2) | instid1(VALU_DEP_3)
	v_mul_f32_e32 v10, s9, v8
	v_cmp_le_f32_e32 vcc_lo, 0xc1a00000, v0
	v_mov_b32_e32 v0, v7
	v_mov_b32_e32 v6, v10
	s_waitcnt vmcnt(0)
	v_dual_cndmask_b32 v12, 0, v5 :: v_dual_mul_f32 v5, v4, v8
	s_delay_alu instid0(VALU_DEP_1) | instskip(NEXT) | instid1(VALU_DEP_2)
	v_dual_fmac_f32 v6, v11, v12 :: v_dual_add_nc_u32 v3, 0xffffff00, v3
	v_fmac_f32_e32 v5, v9, v12
	s_cbranch_scc0 .LBB24_3
	s_branch .LBB24_5
.LBB24_4:
	s_waitcnt lgkmcnt(0)
	v_mov_b32_e32 v6, s9
.LBB24_5:
	s_waitcnt vmcnt(0)
	s_delay_alu instid0(VALU_DEP_1) | instskip(NEXT) | instid1(VALU_DEP_1)
	v_div_scale_f32 v0, null, v6, v6, v5
	v_rcp_f32_e32 v3, v0
	s_waitcnt_depctr 0xfff
	v_fma_f32 v4, -v0, v3, 1.0
	s_delay_alu instid0(VALU_DEP_1) | instskip(SKIP_1) | instid1(VALU_DEP_1)
	v_fmac_f32_e32 v3, v4, v3
	v_div_scale_f32 v4, vcc_lo, v5, v6, v5
	v_mul_f32_e32 v7, v4, v3
	s_delay_alu instid0(VALU_DEP_1) | instskip(NEXT) | instid1(VALU_DEP_1)
	v_fma_f32 v8, -v0, v7, v4
	v_fmac_f32_e32 v7, v8, v3
	s_delay_alu instid0(VALU_DEP_1) | instskip(NEXT) | instid1(VALU_DEP_1)
	v_fma_f32 v0, -v0, v7, v4
	v_div_fmas_f32 v0, v0, v3, v7
	s_delay_alu instid0(VALU_DEP_1)
	v_div_fixup_f32 v0, v0, v6, v5
	global_store_b32 v[1:2], v0, off
.LBB24_6:
	s_nop 0
	s_sendmsg sendmsg(MSG_DEALLOC_VGPRS)
	s_endpgm
	.section	.rodata,"a",@progbits
	.p2align	6, 0x0
	.amdhsa_kernel _ZL33flash_attn_stream_k_fixup_uniformILi256ELi1ELi1EEvPfPK15HIP_vector_typeIfLj2EEiiiiiiS1_IjLj3EES5_S5_
		.amdhsa_group_segment_fixed_size 0
		.amdhsa_private_segment_fixed_size 0
		.amdhsa_kernarg_size 76
		.amdhsa_user_sgpr_count 13
		.amdhsa_user_sgpr_dispatch_ptr 0
		.amdhsa_user_sgpr_queue_ptr 0
		.amdhsa_user_sgpr_kernarg_segment_ptr 1
		.amdhsa_user_sgpr_dispatch_id 0
		.amdhsa_user_sgpr_private_segment_size 0
		.amdhsa_wavefront_size32 1
		.amdhsa_uses_dynamic_stack 0
		.amdhsa_enable_private_segment 0
		.amdhsa_system_sgpr_workgroup_id_x 1
		.amdhsa_system_sgpr_workgroup_id_y 1
		.amdhsa_system_sgpr_workgroup_id_z 1
		.amdhsa_system_sgpr_workgroup_info 0
		.amdhsa_system_vgpr_workitem_id 0
		.amdhsa_next_free_vgpr 15
		.amdhsa_next_free_sgpr 20
		.amdhsa_reserve_vcc 1
		.amdhsa_float_round_mode_32 0
		.amdhsa_float_round_mode_16_64 0
		.amdhsa_float_denorm_mode_32 3
		.amdhsa_float_denorm_mode_16_64 3
		.amdhsa_dx10_clamp 1
		.amdhsa_ieee_mode 1
		.amdhsa_fp16_overflow 0
		.amdhsa_workgroup_processor_mode 1
		.amdhsa_memory_ordered 1
		.amdhsa_forward_progress 0
		.amdhsa_shared_vgpr_count 0
		.amdhsa_exception_fp_ieee_invalid_op 0
		.amdhsa_exception_fp_denorm_src 0
		.amdhsa_exception_fp_ieee_div_zero 0
		.amdhsa_exception_fp_ieee_overflow 0
		.amdhsa_exception_fp_ieee_underflow 0
		.amdhsa_exception_fp_ieee_inexact 0
		.amdhsa_exception_int_div_zero 0
	.end_amdhsa_kernel
	.section	.text._ZL33flash_attn_stream_k_fixup_uniformILi256ELi1ELi1EEvPfPK15HIP_vector_typeIfLj2EEiiiiiiS1_IjLj3EES5_S5_,"axG",@progbits,_ZL33flash_attn_stream_k_fixup_uniformILi256ELi1ELi1EEvPfPK15HIP_vector_typeIfLj2EEiiiiiiS1_IjLj3EES5_S5_,comdat
.Lfunc_end24:
	.size	_ZL33flash_attn_stream_k_fixup_uniformILi256ELi1ELi1EEvPfPK15HIP_vector_typeIfLj2EEiiiiiiS1_IjLj3EES5_S5_, .Lfunc_end24-_ZL33flash_attn_stream_k_fixup_uniformILi256ELi1ELi1EEvPfPK15HIP_vector_typeIfLj2EEiiiiiiS1_IjLj3EES5_S5_
                                        ; -- End function
	.section	.AMDGPU.csdata,"",@progbits
; Kernel info:
; codeLenInByte = 916
; NumSgprs: 22
; NumVgprs: 15
; ScratchSize: 0
; MemoryBound: 0
; FloatMode: 240
; IeeeMode: 1
; LDSByteSize: 0 bytes/workgroup (compile time only)
; SGPRBlocks: 2
; VGPRBlocks: 1
; NumSGPRsForWavesPerEU: 22
; NumVGPRsForWavesPerEU: 15
; Occupancy: 16
; WaveLimiterHint : 0
; COMPUTE_PGM_RSRC2:SCRATCH_EN: 0
; COMPUTE_PGM_RSRC2:USER_SGPR: 13
; COMPUTE_PGM_RSRC2:TRAP_HANDLER: 0
; COMPUTE_PGM_RSRC2:TGID_X_EN: 1
; COMPUTE_PGM_RSRC2:TGID_Y_EN: 1
; COMPUTE_PGM_RSRC2:TGID_Z_EN: 1
; COMPUTE_PGM_RSRC2:TIDIG_COMP_CNT: 0
	.section	.text._ZL33flash_attn_stream_k_fixup_generalILi256ELi1ELi1EEvPfPK15HIP_vector_typeIfLj2EEiiiiS1_IjLj3EES5_S5_S5_,"axG",@progbits,_ZL33flash_attn_stream_k_fixup_generalILi256ELi1ELi1EEvPfPK15HIP_vector_typeIfLj2EEiiiiS1_IjLj3EES5_S5_S5_,comdat
	.globl	_ZL33flash_attn_stream_k_fixup_generalILi256ELi1ELi1EEvPfPK15HIP_vector_typeIfLj2EEiiiiS1_IjLj3EES5_S5_S5_ ; -- Begin function _ZL33flash_attn_stream_k_fixup_generalILi256ELi1ELi1EEvPfPK15HIP_vector_typeIfLj2EEiiiiS1_IjLj3EES5_S5_S5_
	.p2align	8
	.type	_ZL33flash_attn_stream_k_fixup_generalILi256ELi1ELi1EEvPfPK15HIP_vector_typeIfLj2EEiiiiS1_IjLj3EES5_S5_S5_,@function
_ZL33flash_attn_stream_k_fixup_generalILi256ELi1ELi1EEvPfPK15HIP_vector_typeIfLj2EEiiiiS1_IjLj3EES5_S5_S5_: ; @_ZL33flash_attn_stream_k_fixup_generalILi256ELi1ELi1EEvPfPK15HIP_vector_typeIfLj2EEiiiiS1_IjLj3EES5_S5_S5_
; %bb.0:
	s_clause 0x1
	s_load_b128 s[4:7], s[0:1], 0x10
	s_load_b32 s20, s[0:1], 0x50
	s_mov_b32 s2, 0
	s_waitcnt lgkmcnt(0)
	s_mul_hi_i32 s3, s7, s13
	s_mul_i32 s12, s7, s13
	s_cmp_lg_u64 s[2:3], 0
	s_cbranch_scc0 .LBB25_21
; %bb.1:
	v_cvt_f32_ubyte0_e32 v1, 0
	v_cvt_f32_u32_e32 v2, s20
	s_sub_u32 s10, 0, s20
	s_subb_u32 s11, 0, 0
	s_delay_alu instid0(VALU_DEP_1) | instskip(NEXT) | instid1(VALU_DEP_1)
	v_fmamk_f32 v1, v1, 0x4f800000, v2
	v_rcp_f32_e32 v1, v1
	s_waitcnt_depctr 0xfff
	v_mul_f32_e32 v1, 0x5f7ffffc, v1
	s_delay_alu instid0(VALU_DEP_1) | instskip(NEXT) | instid1(VALU_DEP_1)
	v_mul_f32_e32 v2, 0x2f800000, v1
	v_trunc_f32_e32 v2, v2
	s_delay_alu instid0(VALU_DEP_1) | instskip(SKIP_1) | instid1(VALU_DEP_2)
	v_fmamk_f32 v1, v2, 0xcf800000, v1
	v_cvt_u32_f32_e32 v2, v2
	v_cvt_u32_f32_e32 v1, v1
	s_delay_alu instid0(VALU_DEP_2) | instskip(NEXT) | instid1(VALU_DEP_2)
	v_readfirstlane_b32 s8, v2
	v_readfirstlane_b32 s9, v1
	s_delay_alu instid0(VALU_DEP_2) | instskip(NEXT) | instid1(VALU_DEP_1)
	s_mul_i32 s16, s10, s8
	s_mul_hi_u32 s18, s10, s9
	s_mul_i32 s17, s11, s9
	s_add_i32 s16, s18, s16
	s_mul_i32 s19, s10, s9
	s_add_i32 s16, s16, s17
	s_mul_hi_u32 s18, s9, s19
	s_mul_hi_u32 s21, s8, s19
	s_mul_i32 s17, s8, s19
	s_mul_hi_u32 s19, s9, s16
	s_mul_i32 s9, s9, s16
	s_mul_hi_u32 s22, s8, s16
	s_add_u32 s9, s18, s9
	s_addc_u32 s18, 0, s19
	s_add_u32 s9, s9, s17
	s_mul_i32 s16, s8, s16
	s_addc_u32 s9, s18, s21
	s_addc_u32 s17, s22, 0
	s_add_u32 s9, s9, s16
	s_addc_u32 s16, 0, s17
	v_add_co_u32 v1, s9, v1, s9
	s_delay_alu instid0(VALU_DEP_1) | instskip(SKIP_1) | instid1(VALU_DEP_1)
	s_cmp_lg_u32 s9, 0
	s_addc_u32 s8, s8, s16
	v_readfirstlane_b32 s9, v1
	s_mul_i32 s16, s10, s8
	s_delay_alu instid0(VALU_DEP_1)
	s_mul_hi_u32 s17, s10, s9
	s_mul_i32 s11, s11, s9
	s_add_i32 s16, s17, s16
	s_mul_i32 s10, s10, s9
	s_add_i32 s16, s16, s11
	s_mul_hi_u32 s17, s8, s10
	s_mul_i32 s18, s8, s10
	s_mul_hi_u32 s10, s9, s10
	s_mul_hi_u32 s19, s9, s16
	s_mul_i32 s9, s9, s16
	s_mul_hi_u32 s11, s8, s16
	s_add_u32 s9, s10, s9
	s_addc_u32 s10, 0, s19
	s_add_u32 s9, s9, s18
	s_mul_i32 s16, s8, s16
	s_addc_u32 s9, s10, s17
	s_addc_u32 s10, s11, 0
	s_add_u32 s9, s9, s16
	s_addc_u32 s10, 0, s10
	v_add_co_u32 v1, s9, v1, s9
	s_delay_alu instid0(VALU_DEP_1) | instskip(SKIP_2) | instid1(SALU_CYCLE_1)
	s_cmp_lg_u32 s9, 0
	s_addc_u32 s16, s8, s10
	s_ashr_i32 s8, s3, 31
	s_add_u32 s10, s12, s8
	s_addc_u32 s11, s3, s8
	v_readfirstlane_b32 s3, v1
	s_mov_b32 s9, s8
	s_delay_alu instid0(SALU_CYCLE_1) | instskip(NEXT) | instid1(SALU_CYCLE_1)
	s_xor_b64 s[10:11], s[10:11], s[8:9]
	s_mul_i32 s18, s10, s16
	s_delay_alu instid0(VALU_DEP_1)
	s_mul_hi_u32 s19, s10, s3
	s_mul_hi_u32 s17, s10, s16
	;; [unrolled: 1-line block ×3, first 2 shown]
	s_mul_i32 s3, s11, s3
	s_add_u32 s18, s19, s18
	s_addc_u32 s17, 0, s17
	s_mul_hi_u32 s21, s11, s16
	s_add_u32 s3, s18, s3
	s_mul_i32 s16, s11, s16
	s_addc_u32 s3, s17, s22
	s_addc_u32 s17, s21, 0
	s_add_u32 s3, s3, s16
	s_addc_u32 s16, 0, s17
	s_mul_i32 s18, s20, s3
	s_add_u32 s17, s3, 1
	v_sub_co_u32 v1, s10, s10, s18
	s_mul_hi_u32 s18, s20, s3
	s_addc_u32 s19, s16, 0
	s_mul_i32 s21, s20, s16
	s_delay_alu instid0(VALU_DEP_1)
	v_sub_co_u32 v2, s22, v1, s20
	s_add_u32 s23, s3, 2
	s_addc_u32 s24, s16, 0
	s_add_i32 s18, s18, s21
	s_cmp_lg_u32 s10, 0
	v_readfirstlane_b32 s10, v2
	s_subb_u32 s11, s11, s18
	s_cmp_lg_u32 s22, 0
	s_subb_u32 s18, s11, 0
	s_delay_alu instid0(VALU_DEP_1) | instskip(SKIP_4) | instid1(SALU_CYCLE_1)
	s_cmp_ge_u32 s10, s20
	s_cselect_b32 s10, -1, 0
	s_cmp_eq_u32 s18, 0
	v_readfirstlane_b32 s18, v1
	s_cselect_b32 s10, s10, -1
	s_cmp_lg_u32 s10, 0
	s_cselect_b32 s10, s23, s17
	s_cselect_b32 s17, s24, s19
	s_cmp_ge_u32 s18, s20
	s_cselect_b32 s18, -1, 0
	s_cmp_eq_u32 s11, 0
	s_cselect_b32 s11, s18, -1
	s_delay_alu instid0(SALU_CYCLE_1) | instskip(SKIP_2) | instid1(SALU_CYCLE_1)
	s_cmp_lg_u32 s11, 0
	s_cselect_b32 s11, s17, s16
	s_cselect_b32 s10, s10, s3
	s_xor_b64 s[10:11], s[10:11], s[8:9]
	s_delay_alu instid0(SALU_CYCLE_1)
	s_sub_u32 s16, s10, s8
	s_load_b128 s[8:11], s[0:1], 0x44
	s_and_not1_b32 vcc_lo, exec_lo, s2
	s_cbranch_vccnz .LBB25_3
.LBB25_2:
	v_cvt_f32_u32_e32 v1, s20
	s_sub_i32 s3, 0, s20
	s_delay_alu instid0(VALU_DEP_1) | instskip(SKIP_2) | instid1(VALU_DEP_1)
	v_rcp_iflag_f32_e32 v1, v1
	s_waitcnt_depctr 0xfff
	v_mul_f32_e32 v1, 0x4f7ffffe, v1
	v_cvt_u32_f32_e32 v1, v1
	s_delay_alu instid0(VALU_DEP_1) | instskip(NEXT) | instid1(VALU_DEP_1)
	v_readfirstlane_b32 s2, v1
	s_mul_i32 s3, s3, s2
	s_delay_alu instid0(SALU_CYCLE_1) | instskip(NEXT) | instid1(SALU_CYCLE_1)
	s_mul_hi_u32 s3, s2, s3
	s_add_i32 s2, s2, s3
	s_delay_alu instid0(SALU_CYCLE_1) | instskip(NEXT) | instid1(SALU_CYCLE_1)
	s_mul_hi_u32 s2, s12, s2
	s_mul_i32 s3, s2, s20
	s_waitcnt lgkmcnt(0)
	s_add_i32 s11, s2, 1
	s_sub_i32 s3, s12, s3
	s_delay_alu instid0(SALU_CYCLE_1)
	s_sub_i32 s12, s3, s20
	s_cmp_ge_u32 s3, s20
	s_cselect_b32 s2, s11, s2
	s_cselect_b32 s3, s12, s3
	s_add_i32 s11, s2, 1
	s_cmp_ge_u32 s3, s20
	s_cselect_b32 s16, s11, s2
.LBB25_3:
	s_waitcnt lgkmcnt(0)
	s_add_i32 s11, s13, 1
	s_mov_b32 s2, 0
	s_mul_hi_i32 s3, s7, s11
	s_mul_i32 s11, s7, s11
	s_cmp_lg_u64 s[2:3], 0
	s_cbranch_scc0 .LBB25_22
; %bb.4:
	v_cvt_f32_ubyte0_e32 v1, 0
	v_cvt_f32_u32_e32 v2, s20
	s_sub_u32 s18, 0, s20
	s_subb_u32 s19, 0, 0
	s_delay_alu instid0(VALU_DEP_1) | instskip(NEXT) | instid1(VALU_DEP_1)
	v_fmamk_f32 v1, v1, 0x4f800000, v2
	v_rcp_f32_e32 v1, v1
	s_waitcnt_depctr 0xfff
	v_mul_f32_e32 v1, 0x5f7ffffc, v1
	s_delay_alu instid0(VALU_DEP_1) | instskip(NEXT) | instid1(VALU_DEP_1)
	v_mul_f32_e32 v2, 0x2f800000, v1
	v_trunc_f32_e32 v2, v2
	s_delay_alu instid0(VALU_DEP_1) | instskip(SKIP_1) | instid1(VALU_DEP_2)
	v_fmamk_f32 v1, v2, 0xcf800000, v1
	v_cvt_u32_f32_e32 v2, v2
	v_cvt_u32_f32_e32 v1, v1
	s_delay_alu instid0(VALU_DEP_2) | instskip(NEXT) | instid1(VALU_DEP_2)
	v_readfirstlane_b32 s12, v2
	v_readfirstlane_b32 s17, v1
	s_delay_alu instid0(VALU_DEP_2) | instskip(NEXT) | instid1(VALU_DEP_1)
	s_mul_i32 s21, s18, s12
	s_mul_hi_u32 s23, s18, s17
	s_mul_i32 s22, s19, s17
	s_add_i32 s21, s23, s21
	s_mul_i32 s24, s18, s17
	s_add_i32 s21, s21, s22
	s_mul_hi_u32 s23, s17, s24
	s_mul_hi_u32 s25, s12, s24
	s_mul_i32 s22, s12, s24
	s_mul_hi_u32 s24, s17, s21
	s_mul_i32 s17, s17, s21
	s_mul_hi_u32 s26, s12, s21
	s_add_u32 s17, s23, s17
	s_addc_u32 s23, 0, s24
	s_add_u32 s17, s17, s22
	s_mul_i32 s21, s12, s21
	s_addc_u32 s17, s23, s25
	s_addc_u32 s22, s26, 0
	s_add_u32 s17, s17, s21
	s_addc_u32 s21, 0, s22
	v_add_co_u32 v1, s17, v1, s17
	s_delay_alu instid0(VALU_DEP_1) | instskip(SKIP_1) | instid1(VALU_DEP_1)
	s_cmp_lg_u32 s17, 0
	s_addc_u32 s12, s12, s21
	v_readfirstlane_b32 s17, v1
	s_mul_i32 s21, s18, s12
	s_delay_alu instid0(VALU_DEP_1)
	s_mul_hi_u32 s22, s18, s17
	s_mul_i32 s19, s19, s17
	s_add_i32 s21, s22, s21
	s_mul_i32 s18, s18, s17
	s_add_i32 s21, s21, s19
	s_mul_hi_u32 s22, s12, s18
	s_mul_i32 s23, s12, s18
	s_mul_hi_u32 s18, s17, s18
	s_mul_hi_u32 s24, s17, s21
	s_mul_i32 s17, s17, s21
	s_mul_hi_u32 s19, s12, s21
	s_add_u32 s17, s18, s17
	s_addc_u32 s18, 0, s24
	s_add_u32 s17, s17, s23
	s_mul_i32 s21, s12, s21
	s_addc_u32 s17, s18, s22
	s_addc_u32 s18, s19, 0
	s_add_u32 s17, s17, s21
	s_addc_u32 s18, 0, s18
	v_add_co_u32 v1, s17, v1, s17
	s_delay_alu instid0(VALU_DEP_1) | instskip(SKIP_2) | instid1(SALU_CYCLE_1)
	s_cmp_lg_u32 s17, 0
	s_addc_u32 s12, s12, s18
	s_ashr_i32 s18, s3, 31
	s_add_u32 s22, s11, s18
	s_addc_u32 s23, s3, s18
	v_readfirstlane_b32 s3, v1
	s_mov_b32 s19, s18
	s_delay_alu instid0(SALU_CYCLE_1) | instskip(NEXT) | instid1(SALU_CYCLE_1)
	s_xor_b64 s[22:23], s[22:23], s[18:19]
	s_mul_i32 s21, s22, s12
	s_delay_alu instid0(VALU_DEP_1)
	s_mul_hi_u32 s24, s22, s3
	s_mul_hi_u32 s17, s22, s12
	;; [unrolled: 1-line block ×3, first 2 shown]
	s_mul_i32 s3, s23, s3
	s_add_u32 s21, s24, s21
	s_addc_u32 s17, 0, s17
	s_mul_hi_u32 s25, s23, s12
	s_add_u32 s3, s21, s3
	s_mul_i32 s12, s23, s12
	s_addc_u32 s3, s17, s26
	s_addc_u32 s17, s25, 0
	s_add_u32 s3, s3, s12
	s_addc_u32 s12, 0, s17
	s_mul_i32 s21, s20, s3
	s_add_u32 s17, s3, 1
	v_sub_co_u32 v1, s21, s22, s21
	s_mul_hi_u32 s22, s20, s3
	s_addc_u32 s24, s12, 0
	s_mul_i32 s25, s20, s12
	s_delay_alu instid0(VALU_DEP_1)
	v_sub_co_u32 v2, s26, v1, s20
	s_add_u32 s27, s3, 2
	s_addc_u32 s28, s12, 0
	s_add_i32 s22, s22, s25
	s_cmp_lg_u32 s21, 0
	v_readfirstlane_b32 s21, v2
	s_subb_u32 s22, s23, s22
	s_cmp_lg_u32 s26, 0
	s_subb_u32 s23, s22, 0
	s_delay_alu instid0(VALU_DEP_1) | instskip(SKIP_4) | instid1(SALU_CYCLE_1)
	s_cmp_ge_u32 s21, s20
	s_cselect_b32 s21, -1, 0
	s_cmp_eq_u32 s23, 0
	v_readfirstlane_b32 s23, v1
	s_cselect_b32 s21, s21, -1
	s_cmp_lg_u32 s21, 0
	s_cselect_b32 s17, s27, s17
	s_cselect_b32 s21, s28, s24
	s_cmp_ge_u32 s23, s20
	s_cselect_b32 s23, -1, 0
	s_cmp_eq_u32 s22, 0
	s_cselect_b32 s22, s23, -1
	s_delay_alu instid0(SALU_CYCLE_1) | instskip(SKIP_2) | instid1(SALU_CYCLE_1)
	s_cmp_lg_u32 s22, 0
	s_cselect_b32 s23, s21, s12
	s_cselect_b32 s22, s17, s3
	s_xor_b64 s[22:23], s[22:23], s[18:19]
	s_delay_alu instid0(SALU_CYCLE_1)
	s_sub_u32 s18, s22, s18
	s_and_not1_b32 vcc_lo, exec_lo, s2
	s_cbranch_vccnz .LBB25_6
.LBB25_5:
	v_cvt_f32_u32_e32 v1, s20
	s_sub_i32 s3, 0, s20
	s_delay_alu instid0(VALU_DEP_1) | instskip(SKIP_2) | instid1(VALU_DEP_1)
	v_rcp_iflag_f32_e32 v1, v1
	s_waitcnt_depctr 0xfff
	v_mul_f32_e32 v1, 0x4f7ffffe, v1
	v_cvt_u32_f32_e32 v1, v1
	s_delay_alu instid0(VALU_DEP_1) | instskip(NEXT) | instid1(VALU_DEP_1)
	v_readfirstlane_b32 s2, v1
	s_mul_i32 s3, s3, s2
	s_delay_alu instid0(SALU_CYCLE_1) | instskip(NEXT) | instid1(SALU_CYCLE_1)
	s_mul_hi_u32 s3, s2, s3
	s_add_i32 s2, s2, s3
	s_delay_alu instid0(SALU_CYCLE_1) | instskip(NEXT) | instid1(SALU_CYCLE_1)
	s_mul_hi_u32 s2, s11, s2
	s_mul_i32 s3, s2, s20
	s_delay_alu instid0(SALU_CYCLE_1)
	s_sub_i32 s3, s11, s3
	s_add_i32 s11, s2, 1
	s_sub_i32 s12, s3, s20
	s_cmp_ge_u32 s3, s20
	s_cselect_b32 s2, s11, s2
	s_cselect_b32 s3, s12, s3
	s_add_i32 s11, s2, 1
	s_cmp_ge_u32 s3, s20
	s_cselect_b32 s18, s11, s2
.LBB25_6:
	s_delay_alu instid0(SALU_CYCLE_1) | instskip(SKIP_3) | instid1(SALU_CYCLE_1)
	s_cmp_eq_u32 s16, s18
	s_mul_hi_u32 s2, s16, s8
	s_cselect_b32 s3, -1, 0
	s_add_i32 s2, s2, s16
	s_lshr_b32 s11, s2, s9
	s_delay_alu instid0(SALU_CYCLE_1) | instskip(NEXT) | instid1(SALU_CYCLE_1)
	s_mul_i32 s2, s11, s10
	s_cmp_eq_u32 s2, s16
	s_mul_hi_u32 s2, s18, s8
	s_cselect_b32 s12, -1, 0
	s_add_i32 s2, s2, s18
	s_delay_alu instid0(SALU_CYCLE_1) | instskip(NEXT) | instid1(SALU_CYCLE_1)
	s_lshr_b32 s2, s2, s9
	s_cmp_eq_u32 s11, s2
	s_mul_i32 s2, s2, s10
	s_cselect_b32 s17, -1, 0
	s_cmp_lg_u32 s2, s18
	s_cselect_b32 s2, -1, 0
	s_or_b32 s3, s3, s12
	s_and_b32 s2, s17, s2
	s_delay_alu instid0(SALU_CYCLE_1) | instskip(NEXT) | instid1(SALU_CYCLE_1)
	s_or_b32 s2, s3, s2
	s_and_b32 vcc_lo, exec_lo, s2
	s_cbranch_vccnz .LBB25_24
; %bb.7:
	s_load_b256 s[24:31], s[0:1], 0x20
	s_waitcnt lgkmcnt(0)
	s_mul_hi_u32 s2, s16, s24
	s_delay_alu instid0(SALU_CYCLE_1) | instskip(NEXT) | instid1(SALU_CYCLE_1)
	s_add_i32 s2, s2, s16
	s_lshr_b32 s17, s2, s25
	s_load_b32 s2, s[0:1], 0x40
	s_mul_i32 s3, s17, s26
	s_delay_alu instid0(SALU_CYCLE_1) | instskip(NEXT) | instid1(SALU_CYCLE_1)
	s_sub_i32 s3, s16, s3
	s_mul_hi_u32 s12, s3, s27
	s_delay_alu instid0(SALU_CYCLE_1) | instskip(NEXT) | instid1(SALU_CYCLE_1)
	s_add_i32 s12, s3, s12
	s_lshr_b32 s18, s12, s28
	s_delay_alu instid0(SALU_CYCLE_1) | instskip(NEXT) | instid1(SALU_CYCLE_1)
	s_mul_i32 s12, s18, s29
	s_sub_i32 s3, s3, s12
	s_delay_alu instid0(SALU_CYCLE_1) | instskip(NEXT) | instid1(SALU_CYCLE_1)
	s_mul_hi_u32 s12, s3, s30
	s_add_i32 s12, s3, s12
	s_delay_alu instid0(SALU_CYCLE_1) | instskip(SKIP_3) | instid1(SALU_CYCLE_1)
	s_lshr_b32 s21, s12, s31
	s_mov_b32 s12, 0
	s_waitcnt lgkmcnt(0)
	s_mul_i32 s2, s21, s2
	s_sub_i32 s2, s3, s2
	s_delay_alu instid0(SALU_CYCLE_1) | instskip(NEXT) | instid1(SALU_CYCLE_1)
	s_mul_hi_u32 s3, s2, s8
	s_add_i32 s2, s2, s3
	s_delay_alu instid0(SALU_CYCLE_1) | instskip(NEXT) | instid1(SALU_CYCLE_1)
	s_lshr_b32 s19, s2, s9
	s_add_i32 s19, s19, s14
	s_delay_alu instid0(SALU_CYCLE_1) | instskip(SKIP_2) | instid1(SALU_CYCLE_1)
	s_cmp_lt_i32 s19, s4
	s_cselect_b32 s2, -1, 0
	s_add_i32 s21, s21, s15
	s_cmp_lt_i32 s21, s6
	s_cselect_b32 s3, -1, 0
	s_delay_alu instid0(SALU_CYCLE_1) | instskip(NEXT) | instid1(SALU_CYCLE_1)
	s_and_b32 s2, s2, s3
	s_and_not1_b32 vcc_lo, exec_lo, s2
	s_cbranch_vccnz .LBB25_24
; %bb.8:
	s_load_b128 s[0:3], s[0:1], 0x0
	s_lshl_b32 s22, s20, 2
	s_mov_b32 s23, s12
	s_add_i32 s14, s14, s15
	s_lshl_b64 s[22:23], s[22:23], 2
	s_mul_i32 s17, s17, s4
	s_mul_i32 s18, s18, s6
	v_cvt_f32_ubyte0_e32 v4, 0
	v_cvt_f32_u32_e32 v5, s20
	s_waitcnt lgkmcnt(0)
	s_add_u32 s6, s2, s22
	s_addc_u32 s15, s3, s23
	s_add_i32 s4, s19, s17
	s_add_i32 s17, s21, s18
	s_mul_i32 s4, s4, s5
	s_delay_alu instid0(SALU_CYCLE_1) | instskip(NEXT) | instid1(SALU_CYCLE_1)
	s_add_i32 s17, s17, s4
	v_lshl_or_b32 v1, s17, 8, v0
	s_delay_alu instid0(VALU_DEP_1) | instskip(NEXT) | instid1(VALU_DEP_1)
	v_ashrrev_i32_e32 v2, 31, v1
	v_lshlrev_b64 v[1:2], 2, v[1:2]
	s_delay_alu instid0(VALU_DEP_1) | instskip(NEXT) | instid1(VALU_DEP_2)
	v_add_co_u32 v1, vcc_lo, s0, v1
	v_add_co_ci_u32_e32 v2, vcc_lo, s1, v2, vcc_lo
	s_add_i32 s0, s14, s13
	s_delay_alu instid0(SALU_CYCLE_1) | instskip(SKIP_2) | instid1(SALU_CYCLE_1)
	s_ashr_i32 s1, s0, 31
	global_load_b32 v3, v[1:2], off
	s_lshl_b64 s[0:1], s[0:1], 3
	s_add_u32 s0, s2, s0
	s_addc_u32 s1, s3, s1
	s_add_i32 s18, s13, -1
	s_load_b64 s[0:1], s[0:1], 0x0
	v_fmac_f32_e32 v5, 0x4f800000, v4
	s_sub_i32 s17, 0, s20
	s_waitcnt lgkmcnt(0)
	v_mov_b32_e32 v8, s0
	s_delay_alu instid0(VALU_DEP_2) | instskip(SKIP_2) | instid1(VALU_DEP_2)
	v_rcp_f32_e32 v4, v5
	v_cvt_f32_u32_e32 v5, s20
	v_mov_b32_e32 v7, s1
	v_rcp_iflag_f32_e32 v5, v5
	s_waitcnt_depctr 0xfff
	v_mul_f32_e32 v4, 0x5f7ffffc, v4
	s_delay_alu instid0(VALU_DEP_1) | instskip(SKIP_1) | instid1(VALU_DEP_2)
	v_mul_f32_e32 v6, 0x2f800000, v4
	v_mul_f32_e32 v9, 0x4f7ffffe, v5
	v_trunc_f32_e32 v6, v6
	s_delay_alu instid0(VALU_DEP_1) | instskip(SKIP_1) | instid1(VALU_DEP_4)
	v_fmac_f32_e32 v4, 0xcf800000, v6
	v_cvt_u32_f32_e32 v5, v6
	v_cvt_u32_f32_e32 v6, v9
	s_delay_alu instid0(VALU_DEP_3)
	v_cvt_u32_f32_e32 v4, v4
.LBB25_9:                               ; =>This Inner Loop Header: Depth=1
	s_mul_hi_i32 s13, s18, s7
	s_mul_i32 s4, s18, s7
	s_cmp_lg_u64 s[12:13], 0
	s_mov_b32 s5, -1
                                        ; implicit-def: $sgpr0_sgpr1
	s_cbranch_scc0 .LBB25_11
; %bb.10:                               ;   in Loop: Header=BB25_9 Depth=1
	v_readfirstlane_b32 s0, v4
	v_readfirstlane_b32 s1, v5
	s_sub_u32 s5, 0, s20
	s_subb_u32 s19, 0, 0
	s_delay_alu instid0(VALU_DEP_2) | instskip(NEXT) | instid1(VALU_DEP_1)
	s_mul_hi_u32 s21, s5, s0
	s_mul_i32 s22, s5, s1
	s_mul_i32 s23, s19, s0
	s_add_i32 s21, s21, s22
	s_mul_i32 s22, s5, s0
	s_add_i32 s21, s21, s23
	s_mul_hi_u32 s23, s0, s22
	s_mul_i32 s24, s0, s21
	s_mul_hi_u32 s0, s0, s21
	s_add_u32 s23, s23, s24
	s_mul_i32 s25, s1, s22
	s_addc_u32 s0, 0, s0
	s_mul_hi_u32 s22, s1, s22
	s_mul_hi_u32 s24, s1, s21
	s_add_u32 s23, s23, s25
	s_addc_u32 s0, s0, s22
	s_mul_i32 s21, s1, s21
	s_addc_u32 s22, s24, 0
	s_add_u32 s0, s0, s21
	s_addc_u32 s21, 0, s22
	v_add_co_u32 v9, s0, v4, s0
	s_delay_alu instid0(VALU_DEP_1) | instskip(SKIP_1) | instid1(VALU_DEP_1)
	s_cmp_lg_u32 s0, 0
	s_addc_u32 s1, s1, s21
	v_readfirstlane_b32 s0, v9
	s_mul_i32 s21, s5, s1
	s_delay_alu instid0(VALU_DEP_1)
	s_mul_hi_u32 s22, s5, s0
	s_mul_i32 s19, s19, s0
	s_add_i32 s21, s22, s21
	s_mul_i32 s5, s5, s0
	s_add_i32 s21, s21, s19
	s_mul_hi_u32 s19, s1, s5
	s_mul_i32 s23, s1, s5
	s_mul_i32 s24, s0, s21
	s_mul_hi_u32 s5, s0, s5
	s_mul_hi_u32 s0, s0, s21
	s_add_u32 s5, s5, s24
	s_addc_u32 s0, 0, s0
	s_mul_hi_u32 s22, s1, s21
	s_add_u32 s5, s5, s23
	s_addc_u32 s0, s0, s19
	s_mul_i32 s5, s1, s21
	s_addc_u32 s19, s22, 0
	s_add_u32 s0, s0, s5
	s_addc_u32 s5, 0, s19
	v_add_co_u32 v9, s0, v9, s0
	s_delay_alu instid0(VALU_DEP_1) | instskip(SKIP_2) | instid1(SALU_CYCLE_1)
	s_cmp_lg_u32 s0, 0
	s_addc_u32 s5, s1, s5
	s_ashr_i32 s0, s13, 31
	s_add_u32 s22, s4, s0
	s_addc_u32 s23, s13, s0
	v_readfirstlane_b32 s13, v9
	s_mov_b32 s1, s0
	s_delay_alu instid0(SALU_CYCLE_1) | instskip(NEXT) | instid1(SALU_CYCLE_1)
	s_xor_b64 s[22:23], s[22:23], s[0:1]
	s_mul_i32 s19, s22, s5
	s_delay_alu instid0(VALU_DEP_1)
	s_mul_hi_u32 s21, s22, s13
	s_mul_hi_u32 s24, s22, s5
	s_add_u32 s19, s21, s19
	s_mul_i32 s25, s23, s13
	s_addc_u32 s21, 0, s24
	s_mul_hi_u32 s13, s23, s13
	s_mul_hi_u32 s24, s23, s5
	s_add_u32 s19, s19, s25
	s_addc_u32 s13, s21, s13
	s_mul_i32 s5, s23, s5
	s_addc_u32 s19, s24, 0
	s_add_u32 s5, s13, s5
	s_addc_u32 s13, 0, s19
	s_mul_i32 s21, s20, s5
	s_add_u32 s19, s5, 1
	v_sub_co_u32 v9, s21, s22, s21
	s_addc_u32 s22, s13, 0
	s_mul_i32 s25, s20, s13
	s_mul_hi_u32 s27, s20, s5
	s_delay_alu instid0(VALU_DEP_1)
	v_sub_co_u32 v10, s26, v9, s20
	s_add_u32 s24, s5, 2
	s_addc_u32 s28, s13, 0
	s_add_i32 s27, s27, s25
	s_cmp_lg_u32 s21, 0
	v_readfirstlane_b32 s21, v10
	s_subb_u32 s23, s23, s27
	s_cmp_lg_u32 s26, 0
	s_subb_u32 s25, s23, 0
	s_delay_alu instid0(VALU_DEP_1) | instskip(SKIP_4) | instid1(SALU_CYCLE_1)
	s_cmp_ge_u32 s21, s20
	s_cselect_b32 s21, -1, 0
	s_cmp_eq_u32 s25, 0
	v_readfirstlane_b32 s25, v9
	s_cselect_b32 s21, s21, -1
	s_cmp_lg_u32 s21, 0
	s_cselect_b32 s19, s24, s19
	s_cselect_b32 s21, s28, s22
	s_cmp_ge_u32 s25, s20
	s_cselect_b32 s22, -1, 0
	s_cmp_eq_u32 s23, 0
	s_cselect_b32 s22, s22, -1
	s_delay_alu instid0(SALU_CYCLE_1) | instskip(SKIP_4) | instid1(SALU_CYCLE_1)
	s_cmp_lg_u32 s22, 0
	s_cselect_b32 s23, s21, s13
	s_cselect_b32 s22, s19, s5
	s_mov_b32 s5, 0
	s_xor_b64 s[22:23], s[22:23], s[0:1]
	s_sub_u32 s0, s22, s0
.LBB25_11:                              ;   in Loop: Header=BB25_9 Depth=1
	s_and_not1_b32 vcc_lo, exec_lo, s5
	s_cbranch_vccnz .LBB25_13
; %bb.12:                               ;   in Loop: Header=BB25_9 Depth=1
	v_readfirstlane_b32 s0, v6
	s_delay_alu instid0(VALU_DEP_1) | instskip(NEXT) | instid1(SALU_CYCLE_1)
	s_mul_i32 s1, s17, s0
	s_mul_hi_u32 s1, s0, s1
	s_delay_alu instid0(SALU_CYCLE_1) | instskip(NEXT) | instid1(SALU_CYCLE_1)
	s_add_i32 s0, s0, s1
	s_mul_hi_u32 s0, s4, s0
	s_delay_alu instid0(SALU_CYCLE_1) | instskip(NEXT) | instid1(SALU_CYCLE_1)
	s_mul_i32 s1, s0, s20
	s_sub_i32 s1, s4, s1
	s_add_i32 s4, s0, 1
	s_sub_i32 s5, s1, s20
	s_cmp_ge_u32 s1, s20
	s_cselect_b32 s0, s4, s0
	s_cselect_b32 s1, s5, s1
	s_add_i32 s4, s0, 1
	s_cmp_ge_u32 s1, s20
	s_cselect_b32 s0, s4, s0
.LBB25_13:                              ;   in Loop: Header=BB25_9 Depth=1
	s_delay_alu instid0(SALU_CYCLE_1)
	s_cmp_lg_u32 s16, s0
	s_cbranch_scc0 .LBB25_17
; %bb.14:                               ;   in Loop: Header=BB25_9 Depth=1
	s_add_i32 s21, s18, s14
	s_mov_b32 s5, s12
	s_add_i32 s4, s21, s20
	s_mul_hi_u32 s1, s0, s8
	s_lshl_b64 s[4:5], s[4:5], 3
	s_mov_b32 s19, s16
	s_add_u32 s4, s2, s4
	s_addc_u32 s5, s3, s5
	s_add_i32 s1, s1, s0
	s_delay_alu instid0(SALU_CYCLE_1) | instskip(NEXT) | instid1(SALU_CYCLE_1)
	s_lshr_b32 s1, s1, s9
	s_mul_i32 s13, s1, s10
	s_delay_alu instid0(SALU_CYCLE_1) | instskip(SKIP_3) | instid1(SALU_CYCLE_1)
	s_cmp_eq_u32 s13, s0
	s_cselect_b32 s13, -1, 0
	s_cmp_lt_u32 s1, s11
	s_cselect_b32 s1, -1, 0
	s_or_b32 s1, s1, s13
	s_mov_b32 s13, -1
	s_and_b32 vcc_lo, exec_lo, s1
	s_mov_b32 s1, s18
	s_cbranch_vccnz .LBB25_16
; %bb.15:                               ;   in Loop: Header=BB25_9 Depth=1
	s_add_i32 s1, s18, -1
	s_mov_b32 s13, 0
	s_mov_b32 s19, s0
.LBB25_16:                              ;   in Loop: Header=BB25_9 Depth=1
	v_lshl_or_b32 v9, s21, 8, v0
	s_load_b64 s[4:5], s[4:5], 0x0
	s_delay_alu instid0(VALU_DEP_1) | instskip(NEXT) | instid1(VALU_DEP_1)
	v_ashrrev_i32_e32 v10, 31, v9
	v_lshlrev_b64 v[9:10], 2, v[9:10]
	s_delay_alu instid0(VALU_DEP_1) | instskip(NEXT) | instid1(VALU_DEP_2)
	v_add_co_u32 v9, vcc_lo, s6, v9
	v_add_co_ci_u32_e32 v10, vcc_lo, s15, v10, vcc_lo
	s_waitcnt lgkmcnt(0)
	v_max_f32_e64 v11, s4, s4
	global_load_b32 v10, v[9:10], off
	v_max_f32_e32 v9, v8, v8
	s_delay_alu instid0(VALU_DEP_1) | instskip(NEXT) | instid1(VALU_DEP_1)
	v_max_f32_e32 v9, v9, v11
	v_sub_f32_e32 v12, v8, v9
	s_delay_alu instid0(VALU_DEP_1) | instskip(NEXT) | instid1(VALU_DEP_1)
	v_dual_mul_f32 v14, 0x3fb8aa3b, v12 :: v_dual_sub_f32 v11, s4, v9
	v_rndne_f32_e32 v18, v14
	s_delay_alu instid0(VALU_DEP_2) | instskip(SKIP_2) | instid1(VALU_DEP_4)
	v_mul_f32_e32 v13, 0x3fb8aa3b, v11
	v_fma_f32 v17, 0x3fb8aa3b, v12, -v14
	v_cmp_ngt_f32_e32 vcc_lo, 0xc2ce8ed0, v11
	v_sub_f32_e32 v14, v14, v18
	s_delay_alu instid0(VALU_DEP_4) | instskip(SKIP_2) | instid1(VALU_DEP_3)
	v_fma_f32 v15, 0x3fb8aa3b, v11, -v13
	v_rndne_f32_e32 v16, v13
	v_fmac_f32_e32 v17, 0x32a5705f, v12
	v_fmac_f32_e32 v15, 0x32a5705f, v11
	s_delay_alu instid0(VALU_DEP_2) | instskip(NEXT) | instid1(VALU_DEP_1)
	v_dual_sub_f32 v13, v13, v16 :: v_dual_add_f32 v14, v14, v17
	v_add_f32_e32 v13, v13, v15
	s_delay_alu instid0(VALU_DEP_2) | instskip(SKIP_2) | instid1(VALU_DEP_3)
	v_exp_f32_e32 v14, v14
	v_cvt_i32_f32_e32 v15, v16
	v_cvt_i32_f32_e32 v16, v18
	v_exp_f32_e32 v13, v13
	s_waitcnt_depctr 0xfff
	v_ldexp_f32 v14, v14, v16
	v_ldexp_f32 v13, v13, v15
	s_delay_alu instid0(VALU_DEP_1) | instskip(SKIP_1) | instid1(VALU_DEP_4)
	v_cndmask_b32_e32 v13, 0, v13, vcc_lo
	v_cmp_ngt_f32_e32 vcc_lo, 0xc2ce8ed0, v12
	v_cndmask_b32_e32 v14, 0, v14, vcc_lo
	v_cmp_nlt_f32_e32 vcc_lo, 0x42b17218, v11
	s_delay_alu instid0(VALU_DEP_4) | instskip(SKIP_1) | instid1(VALU_DEP_4)
	v_cndmask_b32_e32 v13, 0x7f800000, v13, vcc_lo
	v_cmp_nlt_f32_e32 vcc_lo, 0x42b17218, v12
	v_cndmask_b32_e32 v14, 0x7f800000, v14, vcc_lo
	v_cmp_le_f32_e32 vcc_lo, 0xc1a00000, v11
	s_delay_alu instid0(VALU_DEP_4) | instskip(SKIP_1) | instid1(VALU_DEP_4)
	v_cndmask_b32_e32 v11, 0, v13, vcc_lo
	v_cmp_le_f32_e32 vcc_lo, 0xc1a00000, v12
	v_cndmask_b32_e32 v12, 0, v14, vcc_lo
	s_waitcnt vmcnt(0)
	s_delay_alu instid0(VALU_DEP_3) | instskip(NEXT) | instid1(VALU_DEP_1)
	v_mul_f32_e32 v10, v10, v11
	v_dual_mul_f32 v11, s5, v11 :: v_dual_fmac_f32 v10, v3, v12
	s_delay_alu instid0(VALU_DEP_1)
	v_fmac_f32_e32 v11, v7, v12
	s_cbranch_execz .LBB25_18
	s_branch .LBB25_19
.LBB25_17:                              ;   in Loop: Header=BB25_9 Depth=1
                                        ; implicit-def: $sgpr13
                                        ; implicit-def: $vgpr10
                                        ; implicit-def: $vgpr9
                                        ; implicit-def: $vgpr11
                                        ; implicit-def: $sgpr1
                                        ; implicit-def: $sgpr19
.LBB25_18:                              ;   in Loop: Header=BB25_9 Depth=1
	v_mov_b32_e32 v11, v7
	s_waitcnt vmcnt(0)
	v_dual_mov_b32 v9, v8 :: v_dual_mov_b32 v10, v3
	s_add_i32 s1, s18, -1
	s_mov_b32 s13, 0
	s_mov_b32 s19, s16
.LBB25_19:                              ;   in Loop: Header=BB25_9 Depth=1
	s_and_not1_b32 vcc_lo, exec_lo, s13
	s_cbranch_vccz .LBB25_23
; %bb.20:                               ;   in Loop: Header=BB25_9 Depth=1
	v_dual_mov_b32 v7, v11 :: v_dual_mov_b32 v8, v9
	s_waitcnt vmcnt(0)
	v_mov_b32_e32 v3, v10
	s_mov_b32 s16, s19
	s_mov_b32 s18, s1
	s_branch .LBB25_9
.LBB25_21:
                                        ; implicit-def: $sgpr16_sgpr17
	s_load_b128 s[8:11], s[0:1], 0x44
	s_branch .LBB25_2
.LBB25_22:
                                        ; implicit-def: $sgpr18_sgpr19
	s_branch .LBB25_5
.LBB25_23:
	v_div_scale_f32 v0, null, v11, v11, v10
	s_waitcnt vmcnt(0)
	s_delay_alu instid0(VALU_DEP_1) | instskip(SKIP_2) | instid1(VALU_DEP_1)
	v_rcp_f32_e32 v3, v0
	s_waitcnt_depctr 0xfff
	v_fma_f32 v4, -v0, v3, 1.0
	v_fmac_f32_e32 v3, v4, v3
	v_div_scale_f32 v4, vcc_lo, v10, v11, v10
	s_delay_alu instid0(VALU_DEP_1) | instskip(NEXT) | instid1(VALU_DEP_1)
	v_mul_f32_e32 v5, v4, v3
	v_fma_f32 v6, -v0, v5, v4
	s_delay_alu instid0(VALU_DEP_1) | instskip(NEXT) | instid1(VALU_DEP_1)
	v_fmac_f32_e32 v5, v6, v3
	v_fma_f32 v0, -v0, v5, v4
	s_delay_alu instid0(VALU_DEP_1) | instskip(NEXT) | instid1(VALU_DEP_1)
	v_div_fmas_f32 v0, v0, v3, v5
	v_div_fixup_f32 v0, v0, v11, v10
	global_store_b32 v[1:2], v0, off
.LBB25_24:
	s_nop 0
	s_sendmsg sendmsg(MSG_DEALLOC_VGPRS)
	s_endpgm
	.section	.rodata,"a",@progbits
	.p2align	6, 0x0
	.amdhsa_kernel _ZL33flash_attn_stream_k_fixup_generalILi256ELi1ELi1EEvPfPK15HIP_vector_typeIfLj2EEiiiiS1_IjLj3EES5_S5_S5_
		.amdhsa_group_segment_fixed_size 0
		.amdhsa_private_segment_fixed_size 0
		.amdhsa_kernarg_size 336
		.amdhsa_user_sgpr_count 13
		.amdhsa_user_sgpr_dispatch_ptr 0
		.amdhsa_user_sgpr_queue_ptr 0
		.amdhsa_user_sgpr_kernarg_segment_ptr 1
		.amdhsa_user_sgpr_dispatch_id 0
		.amdhsa_user_sgpr_private_segment_size 0
		.amdhsa_wavefront_size32 1
		.amdhsa_uses_dynamic_stack 0
		.amdhsa_enable_private_segment 0
		.amdhsa_system_sgpr_workgroup_id_x 1
		.amdhsa_system_sgpr_workgroup_id_y 1
		.amdhsa_system_sgpr_workgroup_id_z 1
		.amdhsa_system_sgpr_workgroup_info 0
		.amdhsa_system_vgpr_workitem_id 0
		.amdhsa_next_free_vgpr 19
		.amdhsa_next_free_sgpr 32
		.amdhsa_reserve_vcc 1
		.amdhsa_float_round_mode_32 0
		.amdhsa_float_round_mode_16_64 0
		.amdhsa_float_denorm_mode_32 3
		.amdhsa_float_denorm_mode_16_64 3
		.amdhsa_dx10_clamp 1
		.amdhsa_ieee_mode 1
		.amdhsa_fp16_overflow 0
		.amdhsa_workgroup_processor_mode 1
		.amdhsa_memory_ordered 1
		.amdhsa_forward_progress 0
		.amdhsa_shared_vgpr_count 0
		.amdhsa_exception_fp_ieee_invalid_op 0
		.amdhsa_exception_fp_denorm_src 0
		.amdhsa_exception_fp_ieee_div_zero 0
		.amdhsa_exception_fp_ieee_overflow 0
		.amdhsa_exception_fp_ieee_underflow 0
		.amdhsa_exception_fp_ieee_inexact 0
		.amdhsa_exception_int_div_zero 0
	.end_amdhsa_kernel
	.section	.text._ZL33flash_attn_stream_k_fixup_generalILi256ELi1ELi1EEvPfPK15HIP_vector_typeIfLj2EEiiiiS1_IjLj3EES5_S5_S5_,"axG",@progbits,_ZL33flash_attn_stream_k_fixup_generalILi256ELi1ELi1EEvPfPK15HIP_vector_typeIfLj2EEiiiiS1_IjLj3EES5_S5_S5_,comdat
.Lfunc_end25:
	.size	_ZL33flash_attn_stream_k_fixup_generalILi256ELi1ELi1EEvPfPK15HIP_vector_typeIfLj2EEiiiiS1_IjLj3EES5_S5_S5_, .Lfunc_end25-_ZL33flash_attn_stream_k_fixup_generalILi256ELi1ELi1EEvPfPK15HIP_vector_typeIfLj2EEiiiiS1_IjLj3EES5_S5_S5_
                                        ; -- End function
	.section	.AMDGPU.csdata,"",@progbits
; Kernel info:
; codeLenInByte = 3168
; NumSgprs: 34
; NumVgprs: 19
; ScratchSize: 0
; MemoryBound: 0
; FloatMode: 240
; IeeeMode: 1
; LDSByteSize: 0 bytes/workgroup (compile time only)
; SGPRBlocks: 4
; VGPRBlocks: 2
; NumSGPRsForWavesPerEU: 34
; NumVGPRsForWavesPerEU: 19
; Occupancy: 16
; WaveLimiterHint : 0
; COMPUTE_PGM_RSRC2:SCRATCH_EN: 0
; COMPUTE_PGM_RSRC2:USER_SGPR: 13
; COMPUTE_PGM_RSRC2:TRAP_HANDLER: 0
; COMPUTE_PGM_RSRC2:TGID_X_EN: 1
; COMPUTE_PGM_RSRC2:TGID_Y_EN: 1
; COMPUTE_PGM_RSRC2:TGID_Z_EN: 1
; COMPUTE_PGM_RSRC2:TIDIG_COMP_CNT: 0
	.section	.text._ZL26flash_attn_combine_resultsILi256EEvPKfPK15HIP_vector_typeIfLj2EEPfi,"axG",@progbits,_ZL26flash_attn_combine_resultsILi256EEvPKfPK15HIP_vector_typeIfLj2EEPfi,comdat
	.globl	_ZL26flash_attn_combine_resultsILi256EEvPKfPK15HIP_vector_typeIfLj2EEPfi ; -- Begin function _ZL26flash_attn_combine_resultsILi256EEvPKfPK15HIP_vector_typeIfLj2EEPfi
	.p2align	8
	.type	_ZL26flash_attn_combine_resultsILi256EEvPKfPK15HIP_vector_typeIfLj2EEPfi,@function
_ZL26flash_attn_combine_resultsILi256EEvPKfPK15HIP_vector_typeIfLj2EEPfi: ; @_ZL26flash_attn_combine_resultsILi256EEvPKfPK15HIP_vector_typeIfLj2EEPfi
; %bb.0:
	s_clause 0x3
	s_load_b64 s[2:3], s[0:1], 0x20
	s_load_b32 s11, s[0:1], 0x18
	s_load_b128 s[4:7], s[0:1], 0x0
	s_load_b64 s[8:9], s[0:1], 0x10
	v_lshlrev_b32_e32 v5, 2, v0
	s_mov_b32 s12, exec_lo
	s_waitcnt lgkmcnt(0)
	s_mul_i32 s0, s2, s15
	s_lshl_b32 s1, s11, 1
	s_add_i32 s0, s0, s13
	s_delay_alu instid0(SALU_CYCLE_1) | instskip(NEXT) | instid1(SALU_CYCLE_1)
	s_mul_i32 s10, s0, s3
	s_add_i32 s10, s10, s14
	s_delay_alu instid0(SALU_CYCLE_1)
	s_mul_i32 s2, s10, s11
	v_cmpx_gt_i32_e64 s1, v0
	s_cbranch_execz .LBB26_3
; %bb.1:
	s_ashr_i32 s3, s2, 31
	v_dual_mov_b32 v4, v0 :: v_dual_add_nc_u32 v3, 0, v5
	s_lshl_b64 s[14:15], s[2:3], 3
	s_delay_alu instid0(SALU_CYCLE_1) | instskip(SKIP_2) | instid1(VALU_DEP_1)
	s_add_u32 s0, s6, s14
	s_addc_u32 s3, s7, s15
	v_add_co_u32 v1, s0, s0, v5
	v_add_co_ci_u32_e64 v2, null, s3, 0, s0
	s_mov_b32 s3, 0
	.p2align	6
.LBB26_2:                               ; =>This Inner Loop Header: Depth=1
	global_load_b32 v6, v[1:2], off
	v_add_nc_u32_e32 v4, 0x100, v4
	v_add_co_u32 v1, vcc_lo, 0x400, v1
	v_add_co_ci_u32_e32 v2, vcc_lo, 0, v2, vcc_lo
	s_delay_alu instid0(VALU_DEP_3) | instskip(NEXT) | instid1(VALU_DEP_1)
	v_cmp_le_i32_e64 s0, s1, v4
	s_or_b32 s3, s0, s3
	s_waitcnt vmcnt(0)
	ds_store_b32 v3, v6
	v_add_nc_u32_e32 v3, 0x400, v3
	s_and_not1_b32 exec_lo, exec_lo, s3
	s_cbranch_execnz .LBB26_2
.LBB26_3:
	s_or_b32 exec_lo, exec_lo, s12
	v_mov_b32_e32 v1, 0
	s_waitcnt lgkmcnt(0)
	s_barrier
	buffer_gl0_inv
	s_cmp_lt_i32 s11, 2
	ds_load_b32 v6, v1
	s_cbranch_scc1 .LBB26_11
; %bb.4:
	s_add_i32 s1, s11, -2
	s_add_i32 s0, s11, -1
	s_cmp_lt_u32 s1, 7
	s_cbranch_scc1 .LBB26_8
; %bb.5:
	s_mov_b32 s3, 0
	s_add_i32 s1, 0, 8
	s_and_b32 s6, s0, -8
	.p2align	6
.LBB26_6:                               ; =>This Inner Loop Header: Depth=1
	v_mov_b32_e32 v9, s1
	s_mov_b32 s7, s3
	s_add_i32 s3, s3, 8
	s_add_i32 s1, s1, 64
	s_cmp_eq_u32 s6, s3
	ds_load_2addr_b32 v[1:2], v9 offset1:2
	ds_load_2addr_b32 v[3:4], v9 offset0:4 offset1:6
	ds_load_2addr_b32 v[7:8], v9 offset0:8 offset1:10
	;; [unrolled: 1-line block ×3, first 2 shown]
	s_waitcnt lgkmcnt(3)
	v_max3_f32 v1, v6, v1, v2
	s_waitcnt lgkmcnt(2)
	s_delay_alu instid0(VALU_DEP_1) | instskip(SKIP_1) | instid1(VALU_DEP_1)
	v_max3_f32 v1, v1, v3, v4
	s_waitcnt lgkmcnt(1)
	v_max3_f32 v1, v1, v7, v8
	s_waitcnt lgkmcnt(0)
	s_delay_alu instid0(VALU_DEP_1)
	v_max3_f32 v6, v1, v9, v10
	s_cbranch_scc0 .LBB26_6
; %bb.7:
	s_add_i32 s1, s7, 9
	s_and_b32 s0, s0, 7
	s_delay_alu instid0(SALU_CYCLE_1)
	s_cmp_eq_u32 s0, 0
	s_cbranch_scc0 .LBB26_9
	s_branch .LBB26_11
.LBB26_8:
	s_mov_b32 s1, 1
	s_and_b32 s0, s0, 7
	s_delay_alu instid0(SALU_CYCLE_1)
	s_cmp_eq_u32 s0, 0
	s_cbranch_scc1 .LBB26_11
.LBB26_9:
	s_lshl_b32 s1, s1, 3
	s_delay_alu instid0(SALU_CYCLE_1)
	s_add_i32 s1, s1, 0
.LBB26_10:                              ; =>This Inner Loop Header: Depth=1
	s_waitcnt lgkmcnt(0)
	s_delay_alu instid0(VALU_DEP_1)
	v_dual_mov_b32 v1, s1 :: v_dual_max_f32 v2, v6, v6
	s_add_i32 s0, s0, -1
	s_add_i32 s1, s1, 8
	s_cmp_lg_u32 s0, 0
	ds_load_b32 v1, v1
	s_waitcnt lgkmcnt(0)
	v_max_f32_e32 v1, v1, v1
	s_delay_alu instid0(VALU_DEP_1)
	v_max_f32_e32 v6, v2, v1
	s_cbranch_scc1 .LBB26_10
.LBB26_11:
	s_cmp_lt_i32 s11, 1
	s_cbranch_scc1 .LBB26_16
; %bb.12:
	s_lshl_b32 s0, s2, 8
	v_mov_b32_e32 v7, 0
	s_ashr_i32 s1, s0, 31
	s_mov_b32 s13, 0
	s_lshl_b64 s[0:1], s[0:1], 2
	s_delay_alu instid0(SALU_CYCLE_1)
	s_add_u32 s6, s4, s0
	s_addc_u32 s7, s5, s1
	s_cmp_lt_u32 s11, 8
	s_cbranch_scc1 .LBB26_17
; %bb.13:
	v_or_b32_e32 v1, 0x700, v0
	v_dual_mov_b32 v4, 0 :: v_dual_mov_b32 v7, 0
	v_mov_b32_e32 v8, 0
	s_and_b32 s12, s11, 0x7ffffff8
	s_mov_b32 s14, 0
.LBB26_14:                              ; =>This Inner Loop Header: Depth=1
	s_delay_alu instid0(VALU_DEP_2) | instskip(SKIP_3) | instid1(VALU_DEP_2)
	v_dual_mov_b32 v2, v4 :: v_dual_add_nc_u32 v3, 0xfffff900, v1
	v_mov_b32_e32 v21, s13
	s_add_i32 s14, s14, 8
	s_add_i32 s13, s13, 64
	v_lshlrev_b64 v[9:10], 2, v[3:4]
	v_add_nc_u32_e32 v3, 0xfffffa00, v1
	v_lshlrev_b64 v[11:12], 2, v[1:2]
	s_cmp_eq_u32 s12, s14
	s_delay_alu instid0(VALU_DEP_2) | instskip(NEXT) | instid1(VALU_DEP_4)
	v_lshlrev_b64 v[13:14], 2, v[3:4]
	v_add_co_u32 v9, vcc_lo, s6, v9
	v_add_co_ci_u32_e32 v10, vcc_lo, s7, v10, vcc_lo
	v_add_nc_u32_e32 v3, 0xfffffb00, v1
	s_delay_alu instid0(VALU_DEP_4)
	v_add_co_u32 v13, vcc_lo, s6, v13
	global_load_b32 v25, v[9:10], off
	v_add_co_ci_u32_e32 v14, vcc_lo, s7, v14, vcc_lo
	v_lshlrev_b64 v[15:16], 2, v[3:4]
	v_add_nc_u32_e32 v3, 0xfffffc00, v1
	global_load_b32 v26, v[13:14], off
	v_add_co_u32 v13, vcc_lo, s6, v15
	v_add_co_ci_u32_e32 v14, vcc_lo, s7, v16, vcc_lo
	v_lshlrev_b64 v[9:10], 2, v[3:4]
	v_add_nc_u32_e32 v3, 0xfffffd00, v1
	global_load_b32 v27, v[13:14], off
	v_add_co_u32 v9, vcc_lo, s6, v9
	v_lshlrev_b64 v[15:16], 2, v[3:4]
	v_add_nc_u32_e32 v3, 0xfffffe00, v1
	v_add_co_ci_u32_e32 v10, vcc_lo, s7, v10, vcc_lo
	global_load_b32 v28, v[9:10], off
	v_lshlrev_b64 v[13:14], 2, v[3:4]
	v_add_nc_u32_e32 v3, 0xffffff00, v1
	v_add_co_u32 v9, vcc_lo, s6, v15
	v_add_co_ci_u32_e32 v10, vcc_lo, s7, v16, vcc_lo
	s_delay_alu instid0(VALU_DEP_4) | instskip(NEXT) | instid1(VALU_DEP_4)
	v_add_co_u32 v13, vcc_lo, s6, v13
	v_lshlrev_b64 v[2:3], 2, v[3:4]
	v_add_co_ci_u32_e32 v14, vcc_lo, s7, v14, vcc_lo
	s_clause 0x1
	global_load_b32 v29, v[9:10], off
	global_load_b32 v30, v[13:14], off
	v_add_co_u32 v2, vcc_lo, s6, v2
	v_add_co_ci_u32_e32 v3, vcc_lo, s7, v3, vcc_lo
	v_add_co_u32 v9, vcc_lo, s6, v11
	v_add_co_ci_u32_e32 v10, vcc_lo, s7, v12, vcc_lo
	s_clause 0x1
	global_load_b32 v2, v[2:3], off
	global_load_b32 v3, v[9:10], off
	ds_load_2addr_b64 v[9:12], v21 offset1:1
	ds_load_2addr_b64 v[13:16], v21 offset0:2 offset1:3
	ds_load_2addr_b64 v[17:20], v21 offset0:4 offset1:5
	;; [unrolled: 1-line block ×3, first 2 shown]
	v_add_nc_u32_e32 v1, 0x800, v1
	s_waitcnt lgkmcnt(1)
	v_sub_f32_e32 v19, v19, v6
	v_sub_f32_e32 v11, v11, v6
	s_waitcnt lgkmcnt(0)
	v_sub_f32_e32 v23, v23, v6
	s_delay_alu instid0(VALU_DEP_3) | instskip(NEXT) | instid1(VALU_DEP_3)
	v_dual_sub_f32 v13, v13, v6 :: v_dual_mul_f32 v36, 0x3fb8aa3b, v19
	v_mul_f32_e32 v32, 0x3fb8aa3b, v11
	s_delay_alu instid0(VALU_DEP_2) | instskip(SKIP_1) | instid1(VALU_DEP_4)
	v_dual_mul_f32 v38, 0x3fb8aa3b, v23 :: v_dual_mul_f32 v33, 0x3fb8aa3b, v13
	v_cmp_ngt_f32_e32 vcc_lo, 0xc2ce8ed0, v13
	v_fma_f32 v49, 0x3fb8aa3b, v19, -v36
	s_delay_alu instid0(VALU_DEP_4) | instskip(SKIP_4) | instid1(VALU_DEP_4)
	v_fma_f32 v41, 0x3fb8aa3b, v11, -v32
	v_rndne_f32_e32 v42, v32
	v_fma_f32 v43, 0x3fb8aa3b, v13, -v33
	v_rndne_f32_e32 v44, v33
	v_rndne_f32_e32 v50, v36
	v_dual_fmac_f32 v41, 0x32a5705f, v11 :: v_dual_sub_f32 v32, v32, v42
	v_sub_f32_e32 v15, v15, v6
	v_fmac_f32_e32 v43, 0x32a5705f, v13
	v_sub_f32_e32 v33, v33, v44
	v_cvt_i32_f32_e32 v42, v42
	v_dual_add_f32 v32, v32, v41 :: v_dual_sub_f32 v9, v9, v6
	v_mul_f32_e32 v34, 0x3fb8aa3b, v15
	s_delay_alu instid0(VALU_DEP_4) | instskip(SKIP_1) | instid1(VALU_DEP_4)
	v_add_f32_e32 v33, v33, v43
	v_cvt_i32_f32_e32 v44, v44
	v_exp_f32_e32 v32, v32
	v_mul_f32_e32 v31, 0x3fb8aa3b, v9
	v_fma_f32 v45, 0x3fb8aa3b, v15, -v34
	v_rndne_f32_e32 v46, v34
	v_exp_f32_e32 v33, v33
	v_cmp_ngt_f32_e64 s5, 0xc2ce8ed0, v9
	v_fma_f32 v39, 0x3fb8aa3b, v9, -v31
	v_rndne_f32_e32 v40, v31
	v_dual_fmac_f32 v45, 0x32a5705f, v15 :: v_dual_sub_f32 v34, v34, v46
	v_sub_f32_e32 v17, v17, v6
	s_delay_alu instid0(VALU_DEP_4) | instskip(NEXT) | instid1(VALU_DEP_4)
	v_fmac_f32_e32 v39, 0x32a5705f, v9
	v_sub_f32_e32 v31, v31, v40
	v_cvt_i32_f32_e32 v40, v40
	v_add_f32_e32 v34, v34, v45
	v_ldexp_f32 v32, v32, v42
	v_ldexp_f32 v33, v33, v44
	v_add_f32_e32 v31, v31, v39
	v_cvt_i32_f32_e32 v46, v46
	v_exp_f32_e32 v34, v34
	v_cmp_ngt_f32_e64 s0, 0xc2ce8ed0, v15
	v_fmac_f32_e32 v49, 0x32a5705f, v19
	v_exp_f32_e32 v31, v31
	v_sub_f32_e32 v36, v36, v50
	v_cvt_i32_f32_e32 v50, v50
	v_cmp_ngt_f32_e64 s1, 0xc2ce8ed0, v17
	v_rndne_f32_e32 v54, v38
	s_delay_alu instid0(VALU_DEP_4) | instskip(NEXT) | instid1(TRANS32_DEP_2)
	v_add_f32_e32 v36, v36, v49
	v_ldexp_f32 v34, v34, v46
	v_cmp_ngt_f32_e64 s2, 0xc2ce8ed0, v19
	s_delay_alu instid0(TRANS32_DEP_1) | instskip(NEXT) | instid1(VALU_DEP_4)
	v_ldexp_f32 v31, v31, v40
	v_exp_f32_e32 v36, v36
	s_delay_alu instid0(VALU_DEP_1) | instskip(SKIP_1) | instid1(VALU_DEP_1)
	v_cndmask_b32_e64 v31, 0, v31, s5
	v_cmp_ngt_f32_e64 s5, 0xc2ce8ed0, v11
	v_cndmask_b32_e64 v32, 0, v32, s5
	v_cmp_nlt_f32_e64 s5, 0x42b17218, v9
	s_waitcnt_depctr 0xfff
	v_ldexp_f32 v36, v36, v50
	v_cndmask_b32_e64 v9, 0x7f800000, v31, s5
	v_cndmask_b32_e32 v31, 0, v33, vcc_lo
	v_cmp_nlt_f32_e32 vcc_lo, 0x42b17218, v11
	s_delay_alu instid0(VALU_DEP_3) | instskip(SKIP_1) | instid1(VALU_DEP_2)
	v_dual_fmac_f32 v8, v9, v10 :: v_dual_cndmask_b32 v11, 0x7f800000, v32
	v_cmp_nlt_f32_e32 vcc_lo, 0x42b17218, v13
	v_fmac_f32_e32 v8, v11, v12
	v_cndmask_b32_e32 v10, 0x7f800000, v31, vcc_lo
	v_cmp_nlt_f32_e32 vcc_lo, 0x42b17218, v15
	v_fma_f32 v53, 0x3fb8aa3b, v23, -v38
	v_sub_f32_e32 v38, v38, v54
	v_cvt_i32_f32_e32 v54, v54
	v_fmac_f32_e32 v8, v10, v14
	v_cmp_ngt_f32_e64 s4, 0xc2ce8ed0, v23
	v_fmac_f32_e32 v53, 0x32a5705f, v23
	s_delay_alu instid0(VALU_DEP_1) | instskip(NEXT) | instid1(VALU_DEP_1)
	v_dual_sub_f32 v21, v21, v6 :: v_dual_add_f32 v38, v38, v53
	v_cmp_ngt_f32_e64 s3, 0xc2ce8ed0, v21
	s_delay_alu instid0(VALU_DEP_2)
	v_exp_f32_e32 v38, v38
	s_waitcnt_depctr 0xfff
	v_ldexp_f32 v38, v38, v54
	s_waitcnt vmcnt(7)
	v_fmac_f32_e32 v7, v25, v9
	v_cndmask_b32_e64 v9, 0, v34, s0
	s_delay_alu instid0(VALU_DEP_1) | instskip(SKIP_1) | instid1(VALU_DEP_3)
	v_cndmask_b32_e32 v9, 0x7f800000, v9, vcc_lo
	s_waitcnt vmcnt(6)
	v_fmac_f32_e32 v7, v26, v11
	v_cmp_nlt_f32_e32 vcc_lo, 0x42b17218, v17
	s_delay_alu instid0(VALU_DEP_3) | instskip(SKIP_1) | instid1(VALU_DEP_3)
	v_dual_fmac_f32 v8, v9, v16 :: v_dual_mul_f32 v35, 0x3fb8aa3b, v17
	s_waitcnt vmcnt(5)
	v_fmac_f32_e32 v7, v27, v10
	s_delay_alu instid0(VALU_DEP_2) | instskip(SKIP_2) | instid1(VALU_DEP_3)
	v_fma_f32 v47, 0x3fb8aa3b, v17, -v35
	v_rndne_f32_e32 v48, v35
	v_cndmask_b32_e64 v10, 0, v36, s2
	v_fmac_f32_e32 v47, 0x32a5705f, v17
	s_delay_alu instid0(VALU_DEP_3) | instskip(SKIP_1) | instid1(VALU_DEP_2)
	v_sub_f32_e32 v35, v35, v48
	v_cvt_i32_f32_e32 v48, v48
	v_add_f32_e32 v35, v35, v47
	s_waitcnt vmcnt(4)
	v_fmac_f32_e32 v7, v28, v9
	s_delay_alu instid0(VALU_DEP_2) | instskip(SKIP_2) | instid1(VALU_DEP_1)
	v_exp_f32_e32 v35, v35
	s_waitcnt_depctr 0xfff
	v_ldexp_f32 v35, v35, v48
	v_cndmask_b32_e64 v11, 0, v35, s1
	s_delay_alu instid0(VALU_DEP_1) | instskip(SKIP_1) | instid1(VALU_DEP_2)
	v_cndmask_b32_e32 v11, 0x7f800000, v11, vcc_lo
	v_cmp_nlt_f32_e32 vcc_lo, 0x42b17218, v19
	v_fmac_f32_e32 v8, v11, v18
	v_cndmask_b32_e32 v10, 0x7f800000, v10, vcc_lo
	v_mul_f32_e32 v37, 0x3fb8aa3b, v21
	s_waitcnt vmcnt(3)
	v_fmac_f32_e32 v7, v29, v11
	v_cmp_nlt_f32_e32 vcc_lo, 0x42b17218, v21
	v_cndmask_b32_e64 v11, 0, v38, s4
	v_fmac_f32_e32 v8, v10, v20
	v_fma_f32 v51, 0x3fb8aa3b, v21, -v37
	v_rndne_f32_e32 v52, v37
	s_waitcnt vmcnt(2)
	v_fmac_f32_e32 v7, v30, v10
	s_delay_alu instid0(VALU_DEP_3) | instskip(NEXT) | instid1(VALU_DEP_3)
	v_fmac_f32_e32 v51, 0x32a5705f, v21
	v_sub_f32_e32 v37, v37, v52
	v_cvt_i32_f32_e32 v52, v52
	s_delay_alu instid0(VALU_DEP_2) | instskip(NEXT) | instid1(VALU_DEP_1)
	v_add_f32_e32 v37, v37, v51
	v_exp_f32_e32 v37, v37
	s_waitcnt_depctr 0xfff
	v_ldexp_f32 v37, v37, v52
	s_delay_alu instid0(VALU_DEP_1) | instskip(NEXT) | instid1(VALU_DEP_1)
	v_cndmask_b32_e64 v9, 0, v37, s3
	v_cndmask_b32_e32 v9, 0x7f800000, v9, vcc_lo
	v_cmp_nlt_f32_e32 vcc_lo, 0x42b17218, v23
	s_delay_alu instid0(VALU_DEP_2) | instskip(SKIP_3) | instid1(VALU_DEP_1)
	v_fmac_f32_e32 v8, v9, v22
	s_waitcnt vmcnt(1)
	v_dual_cndmask_b32 v10, 0x7f800000, v11 :: v_dual_fmac_f32 v7, v2, v9
	s_waitcnt vmcnt(0)
	v_dual_fmac_f32 v8, v10, v24 :: v_dual_fmac_f32 v7, v3, v10
	s_cbranch_scc0 .LBB26_14
; %bb.15:
	s_and_b32 s0, s11, 7
	s_delay_alu instid0(SALU_CYCLE_1)
	s_cmp_eq_u32 s0, 0
	s_cbranch_scc0 .LBB26_18
	s_branch .LBB26_20
.LBB26_16:
	v_mov_b32_e32 v0, 0x7fc00000
	s_branch .LBB26_21
.LBB26_17:
	v_mov_b32_e32 v8, 0
	s_mov_b32 s12, 0
	s_and_b32 s0, s11, 7
	s_delay_alu instid0(SALU_CYCLE_1)
	s_cmp_eq_u32 s0, 0
	s_cbranch_scc1 .LBB26_20
.LBB26_18:
	v_lshl_or_b32 v0, s12, 8, v0
	v_mov_b32_e32 v1, 0
	s_lshl_b32 s1, s12, 3
	s_delay_alu instid0(SALU_CYCLE_1)
	s_add_i32 s1, s1, 0
	s_set_inst_prefetch_distance 0x1
	.p2align	6
.LBB26_19:                              ; =>This Inner Loop Header: Depth=1
	s_delay_alu instid0(VALU_DEP_1) | instskip(SKIP_2) | instid1(VALU_DEP_2)
	v_lshlrev_b64 v[2:3], 2, v[0:1]
	s_add_i32 s0, s0, -1
	v_add_nc_u32_e32 v0, 0x100, v0
	v_add_co_u32 v2, vcc_lo, s6, v2
	s_delay_alu instid0(VALU_DEP_3)
	v_add_co_ci_u32_e32 v3, vcc_lo, s7, v3, vcc_lo
	global_load_b32 v4, v[2:3], off
	v_mov_b32_e32 v2, s1
	s_add_i32 s1, s1, 8
	s_cmp_lg_u32 s0, 0
	ds_load_b64 v[2:3], v2
	s_waitcnt lgkmcnt(0)
	v_sub_f32_e32 v2, v2, v6
	s_delay_alu instid0(VALU_DEP_1) | instskip(SKIP_1) | instid1(VALU_DEP_2)
	v_mul_f32_e32 v9, 0x3fb8aa3b, v2
	v_cmp_ngt_f32_e32 vcc_lo, 0xc2ce8ed0, v2
	v_fma_f32 v10, 0x3fb8aa3b, v2, -v9
	v_rndne_f32_e32 v11, v9
	s_delay_alu instid0(VALU_DEP_1) | instskip(NEXT) | instid1(VALU_DEP_1)
	v_dual_fmac_f32 v10, 0x32a5705f, v2 :: v_dual_sub_f32 v9, v9, v11
	v_add_f32_e32 v9, v9, v10
	v_cvt_i32_f32_e32 v10, v11
	s_delay_alu instid0(VALU_DEP_2) | instskip(SKIP_2) | instid1(VALU_DEP_1)
	v_exp_f32_e32 v9, v9
	s_waitcnt_depctr 0xfff
	v_ldexp_f32 v9, v9, v10
	v_cndmask_b32_e32 v9, 0, v9, vcc_lo
	v_cmp_nlt_f32_e32 vcc_lo, 0x42b17218, v2
	s_delay_alu instid0(VALU_DEP_2) | instskip(SKIP_1) | instid1(VALU_DEP_1)
	v_cndmask_b32_e32 v2, 0x7f800000, v9, vcc_lo
	s_waitcnt vmcnt(0)
	v_dual_fmac_f32 v8, v2, v3 :: v_dual_fmac_f32 v7, v4, v2
	s_cbranch_scc1 .LBB26_19
.LBB26_20:
	s_set_inst_prefetch_distance 0x2
	s_delay_alu instid0(VALU_DEP_1) | instskip(NEXT) | instid1(VALU_DEP_1)
	v_div_scale_f32 v0, null, v8, v8, v7
	v_rcp_f32_e32 v1, v0
	s_waitcnt_depctr 0xfff
	v_fma_f32 v2, -v0, v1, 1.0
	s_delay_alu instid0(VALU_DEP_1) | instskip(SKIP_1) | instid1(VALU_DEP_1)
	v_fmac_f32_e32 v1, v2, v1
	v_div_scale_f32 v2, vcc_lo, v7, v8, v7
	v_mul_f32_e32 v3, v2, v1
	s_delay_alu instid0(VALU_DEP_1) | instskip(NEXT) | instid1(VALU_DEP_1)
	v_fma_f32 v4, -v0, v3, v2
	v_fmac_f32_e32 v3, v4, v1
	s_delay_alu instid0(VALU_DEP_1) | instskip(NEXT) | instid1(VALU_DEP_1)
	v_fma_f32 v0, -v0, v3, v2
	v_div_fmas_f32 v0, v0, v1, v3
	s_delay_alu instid0(VALU_DEP_1)
	v_div_fixup_f32 v0, v0, v8, v7
.LBB26_21:
	s_lshl_b32 s0, s10, 8
	s_delay_alu instid0(SALU_CYCLE_1) | instskip(NEXT) | instid1(SALU_CYCLE_1)
	s_ashr_i32 s1, s0, 31
	s_lshl_b64 s[0:1], s[0:1], 2
	s_delay_alu instid0(SALU_CYCLE_1)
	s_add_u32 s0, s8, s0
	s_addc_u32 s1, s9, s1
	global_store_b32 v5, v0, s[0:1]
	s_nop 0
	s_sendmsg sendmsg(MSG_DEALLOC_VGPRS)
	s_endpgm
	.section	.rodata,"a",@progbits
	.p2align	6, 0x0
	.amdhsa_kernel _ZL26flash_attn_combine_resultsILi256EEvPKfPK15HIP_vector_typeIfLj2EEPfi
		.amdhsa_group_segment_fixed_size 0
		.amdhsa_private_segment_fixed_size 0
		.amdhsa_kernarg_size 288
		.amdhsa_user_sgpr_count 13
		.amdhsa_user_sgpr_dispatch_ptr 0
		.amdhsa_user_sgpr_queue_ptr 0
		.amdhsa_user_sgpr_kernarg_segment_ptr 1
		.amdhsa_user_sgpr_dispatch_id 0
		.amdhsa_user_sgpr_private_segment_size 0
		.amdhsa_wavefront_size32 1
		.amdhsa_uses_dynamic_stack 0
		.amdhsa_enable_private_segment 0
		.amdhsa_system_sgpr_workgroup_id_x 1
		.amdhsa_system_sgpr_workgroup_id_y 1
		.amdhsa_system_sgpr_workgroup_id_z 1
		.amdhsa_system_sgpr_workgroup_info 0
		.amdhsa_system_vgpr_workitem_id 0
		.amdhsa_next_free_vgpr 55
		.amdhsa_next_free_sgpr 16
		.amdhsa_reserve_vcc 1
		.amdhsa_float_round_mode_32 0
		.amdhsa_float_round_mode_16_64 0
		.amdhsa_float_denorm_mode_32 3
		.amdhsa_float_denorm_mode_16_64 3
		.amdhsa_dx10_clamp 1
		.amdhsa_ieee_mode 1
		.amdhsa_fp16_overflow 0
		.amdhsa_workgroup_processor_mode 1
		.amdhsa_memory_ordered 1
		.amdhsa_forward_progress 0
		.amdhsa_shared_vgpr_count 0
		.amdhsa_exception_fp_ieee_invalid_op 0
		.amdhsa_exception_fp_denorm_src 0
		.amdhsa_exception_fp_ieee_div_zero 0
		.amdhsa_exception_fp_ieee_overflow 0
		.amdhsa_exception_fp_ieee_underflow 0
		.amdhsa_exception_fp_ieee_inexact 0
		.amdhsa_exception_int_div_zero 0
	.end_amdhsa_kernel
	.section	.text._ZL26flash_attn_combine_resultsILi256EEvPKfPK15HIP_vector_typeIfLj2EEPfi,"axG",@progbits,_ZL26flash_attn_combine_resultsILi256EEvPKfPK15HIP_vector_typeIfLj2EEPfi,comdat
.Lfunc_end26:
	.size	_ZL26flash_attn_combine_resultsILi256EEvPKfPK15HIP_vector_typeIfLj2EEPfi, .Lfunc_end26-_ZL26flash_attn_combine_resultsILi256EEvPKfPK15HIP_vector_typeIfLj2EEPfi
                                        ; -- End function
	.section	.AMDGPU.csdata,"",@progbits
; Kernel info:
; codeLenInByte = 2352
; NumSgprs: 18
; NumVgprs: 55
; ScratchSize: 0
; MemoryBound: 0
; FloatMode: 240
; IeeeMode: 1
; LDSByteSize: 0 bytes/workgroup (compile time only)
; SGPRBlocks: 2
; VGPRBlocks: 6
; NumSGPRsForWavesPerEU: 18
; NumVGPRsForWavesPerEU: 55
; Occupancy: 16
; WaveLimiterHint : 0
; COMPUTE_PGM_RSRC2:SCRATCH_EN: 0
; COMPUTE_PGM_RSRC2:USER_SGPR: 13
; COMPUTE_PGM_RSRC2:TRAP_HANDLER: 0
; COMPUTE_PGM_RSRC2:TGID_X_EN: 1
; COMPUTE_PGM_RSRC2:TGID_Y_EN: 1
; COMPUTE_PGM_RSRC2:TGID_Z_EN: 1
; COMPUTE_PGM_RSRC2:TIDIG_COMP_CNT: 0
	.section	.text._ZL18flash_attn_ext_vecILi256ELi1EL9ggml_type30ELS0_1ELb1EEvPKcS2_S2_S2_S2_PKiPfP15HIP_vector_typeIfLj2EEffffjfiS6_IjLj3EEiiiiiiiiiiiliiliiiiil,"axG",@progbits,_ZL18flash_attn_ext_vecILi256ELi1EL9ggml_type30ELS0_1ELb1EEvPKcS2_S2_S2_S2_PKiPfP15HIP_vector_typeIfLj2EEffffjfiS6_IjLj3EEiiiiiiiiiiiliiliiiiil,comdat
	.globl	_ZL18flash_attn_ext_vecILi256ELi1EL9ggml_type30ELS0_1ELb1EEvPKcS2_S2_S2_S2_PKiPfP15HIP_vector_typeIfLj2EEffffjfiS6_IjLj3EEiiiiiiiiiiiliiliiiiil ; -- Begin function _ZL18flash_attn_ext_vecILi256ELi1EL9ggml_type30ELS0_1ELb1EEvPKcS2_S2_S2_S2_PKiPfP15HIP_vector_typeIfLj2EEffffjfiS6_IjLj3EEiiiiiiiiiiiliiliiiiil
	.p2align	8
	.type	_ZL18flash_attn_ext_vecILi256ELi1EL9ggml_type30ELS0_1ELb1EEvPKcS2_S2_S2_S2_PKiPfP15HIP_vector_typeIfLj2EEffffjfiS6_IjLj3EEiiiiiiiiiiiliiliiiiil,@function
_ZL18flash_attn_ext_vecILi256ELi1EL9ggml_type30ELS0_1ELb1EEvPKcS2_S2_S2_S2_PKiPfP15HIP_vector_typeIfLj2EEffffjfiS6_IjLj3EEiiiiiiiiiiiliiliiiiil: ; @_ZL18flash_attn_ext_vecILi256ELi1EL9ggml_type30ELS0_1ELb1EEvPKcS2_S2_S2_S2_PKiPfP15HIP_vector_typeIfLj2EEffffjfiS6_IjLj3EEiiiiiiiiiiiliiliiiiil
; %bb.0:
	s_clause 0x2
	s_load_b64 s[34:35], s[0:1], 0x64
	s_load_b64 s[38:39], s[0:1], 0x80
	;; [unrolled: 1-line block ×3, first 2 shown]
	v_mov_b32_e32 v39, 1.0
	s_load_b64 s[40:41], s[0:1], 0x50
	s_waitcnt lgkmcnt(0)
	v_cvt_f32_u32_e32 v1, s35
	s_sub_i32 s3, 0, s35
	s_delay_alu instid0(VALU_DEP_1) | instskip(SKIP_2) | instid1(VALU_DEP_1)
	v_rcp_iflag_f32_e32 v1, v1
	s_waitcnt_depctr 0xfff
	v_mul_f32_e32 v1, 0x4f7ffffe, v1
	v_cvt_u32_f32_e32 v1, v1
	s_delay_alu instid0(VALU_DEP_1) | instskip(NEXT) | instid1(VALU_DEP_1)
	v_readfirstlane_b32 s2, v1
	s_mul_i32 s3, s3, s2
	s_delay_alu instid0(SALU_CYCLE_1) | instskip(NEXT) | instid1(SALU_CYCLE_1)
	s_mul_hi_u32 s3, s2, s3
	s_add_i32 s2, s2, s3
	s_delay_alu instid0(SALU_CYCLE_1) | instskip(NEXT) | instid1(SALU_CYCLE_1)
	s_mul_hi_u32 s2, s15, s2
	s_mul_i32 s3, s2, s35
	s_add_i32 s6, s2, 1
	s_sub_i32 s3, s15, s3
	s_delay_alu instid0(SALU_CYCLE_1)
	s_sub_i32 s7, s3, s35
	s_cmp_ge_u32 s3, s35
	s_cselect_b32 s2, s6, s2
	s_cselect_b32 s3, s7, s3
	s_add_i32 s6, s2, 1
	s_cmp_ge_u32 s3, s35
	s_cselect_b32 s12, s6, s2
	s_abs_i32 s2, s39
	s_abs_i32 s8, s35
	v_cvt_f32_u32_e32 v1, s2
	s_sub_i32 s6, 0, s2
	s_xor_b32 s7, s35, s39
	s_delay_alu instid0(SALU_CYCLE_1) | instskip(NEXT) | instid1(VALU_DEP_1)
	s_ashr_i32 s7, s7, 31
	v_rcp_iflag_f32_e32 v1, v1
	s_waitcnt_depctr 0xfff
	v_mul_f32_e32 v1, 0x4f7ffffe, v1
	s_delay_alu instid0(VALU_DEP_1) | instskip(NEXT) | instid1(VALU_DEP_1)
	v_cvt_u32_f32_e32 v1, v1
	v_readfirstlane_b32 s3, v1
	s_delay_alu instid0(VALU_DEP_1) | instskip(NEXT) | instid1(SALU_CYCLE_1)
	s_mul_i32 s6, s6, s3
	s_mul_hi_u32 s6, s3, s6
	s_delay_alu instid0(SALU_CYCLE_1) | instskip(SKIP_4) | instid1(SALU_CYCLE_1)
	s_add_i32 s3, s3, s6
	s_mul_i32 s6, s12, s35
	s_mul_hi_u32 s3, s8, s3
	s_sub_i32 s36, s15, s6
	s_mul_i32 s9, s3, s2
	s_sub_i32 s6, s8, s9
	s_add_i32 s8, s3, 1
	s_sub_i32 s9, s6, s2
	s_cmp_ge_u32 s6, s2
	s_cselect_b32 s3, s8, s3
	s_cselect_b32 s6, s9, s6
	s_add_i32 s8, s3, 1
	s_cmp_ge_u32 s6, s2
	s_cselect_b32 s2, s8, s3
	s_abs_i32 s15, s4
	s_xor_b32 s2, s2, s7
	v_cvt_f32_u32_e32 v1, s15
	s_sub_i32 s6, s2, s7
	s_load_b128 s[8:11], s[0:1], 0x40
	s_abs_i32 s33, s6
	s_delay_alu instid0(SALU_CYCLE_1) | instskip(SKIP_1) | instid1(VALU_DEP_1)
	v_cvt_f32_u32_e32 v2, s33
	v_rcp_iflag_f32_e32 v1, v1
	v_rcp_iflag_f32_e32 v2, v2
	s_waitcnt_depctr 0xfff
	v_dual_mul_f32 v1, 0x4f7ffffe, v1 :: v_dual_mul_f32 v2, 0x4f7ffffe, v2
	s_delay_alu instid0(VALU_DEP_1) | instskip(SKIP_2) | instid1(VALU_DEP_3)
	v_cvt_u32_f32_e32 v1, v1
	s_waitcnt lgkmcnt(0)
	v_cmp_le_f32_e64 s2, s9, 0
	v_cvt_u32_f32_e32 v2, v2
	s_delay_alu instid0(VALU_DEP_3) | instskip(NEXT) | instid1(VALU_DEP_3)
	v_readfirstlane_b32 s7, v1
	s_and_b32 vcc_lo, exec_lo, s2
	s_delay_alu instid0(VALU_DEP_2)
	v_readfirstlane_b32 s9, v2
	s_cbranch_vccnz .LBB27_2
; %bb.1:
	s_sub_i32 s2, s36, s40
	s_add_i32 s3, s36, 1
	s_lshl_b32 s2, s2, 1
	v_mov_b32_e32 v1, s10
	s_or_b32 s2, s2, 1
	s_cmp_lt_u32 s36, s40
	s_cselect_b32 vcc_lo, -1, 0
	s_delay_alu instid0(VALU_DEP_1)
	v_cndmask_b32_e32 v3, s11, v1, vcc_lo
	s_and_b32 s4, vcc_lo, exec_lo
	s_cselect_b32 s2, s3, s2
	s_mov_b32 s3, 0x3e76c4e1
	v_cvt_f32_i32_e32 v1, s2
	v_cmp_neq_f32_e32 vcc_lo, 1.0, v3
	s_delay_alu instid0(VALU_DEP_2) | instskip(NEXT) | instid1(VALU_DEP_1)
	v_cndmask_b32_e32 v4, 1.0, v1, vcc_lo
	v_cmp_eq_f32_e32 vcc_lo, 0, v4
	v_cndmask_b32_e64 v5, |v3|, 1.0, vcc_lo
	s_delay_alu instid0(VALU_DEP_1) | instskip(NEXT) | instid1(VALU_DEP_1)
	v_frexp_mant_f32_e32 v1, v5
	v_cmp_gt_f32_e64 s2, 0x3f2aaaab, v1
	s_delay_alu instid0(VALU_DEP_1) | instskip(NEXT) | instid1(VALU_DEP_1)
	v_cndmask_b32_e64 v2, 1.0, 2.0, s2
	v_mul_f32_e32 v1, v1, v2
	s_delay_alu instid0(VALU_DEP_1) | instskip(SKIP_1) | instid1(VALU_DEP_2)
	v_add_f32_e32 v2, 1.0, v1
	v_add_f32_e32 v7, -1.0, v1
	v_rcp_f32_e32 v6, v2
	s_waitcnt_depctr 0xfff
	v_mul_f32_e32 v8, v7, v6
	s_delay_alu instid0(VALU_DEP_1) | instskip(NEXT) | instid1(VALU_DEP_1)
	v_dual_add_f32 v9, -1.0, v2 :: v_dual_mul_f32 v10, v2, v8
	v_sub_f32_e32 v1, v1, v9
	v_cndmask_b32_e64 v3, v3, 1.0, vcc_lo
	s_delay_alu instid0(VALU_DEP_3) | instskip(NEXT) | instid1(VALU_DEP_2)
	v_fma_f32 v2, v8, v2, -v10
	v_cmp_eq_f32_e64 s4, 0, v3
	s_delay_alu instid0(VALU_DEP_2) | instskip(NEXT) | instid1(VALU_DEP_1)
	v_fmac_f32_e32 v2, v8, v1
	v_add_f32_e32 v1, v10, v2
	s_delay_alu instid0(VALU_DEP_1) | instskip(NEXT) | instid1(VALU_DEP_1)
	v_dual_sub_f32 v10, v1, v10 :: v_dual_sub_f32 v9, v7, v1
	v_dual_sub_f32 v2, v10, v2 :: v_dual_sub_f32 v7, v7, v9
	s_delay_alu instid0(VALU_DEP_1) | instskip(NEXT) | instid1(VALU_DEP_1)
	v_sub_f32_e32 v1, v7, v1
	v_add_f32_e32 v1, v2, v1
	s_delay_alu instid0(VALU_DEP_1) | instskip(NEXT) | instid1(VALU_DEP_1)
	v_add_f32_e32 v1, v9, v1
	v_mul_f32_e32 v1, v6, v1
	s_delay_alu instid0(VALU_DEP_1) | instskip(NEXT) | instid1(VALU_DEP_1)
	v_add_f32_e32 v6, v8, v1
	v_sub_f32_e32 v2, v6, v8
	v_mul_f32_e32 v7, v6, v6
	s_delay_alu instid0(VALU_DEP_2) | instskip(NEXT) | instid1(VALU_DEP_2)
	v_sub_f32_e32 v8, v1, v2
	v_fma_f32 v9, v6, v6, -v7
	s_delay_alu instid0(VALU_DEP_2) | instskip(NEXT) | instid1(VALU_DEP_1)
	v_add_f32_e32 v1, v8, v8
	v_fmac_f32_e32 v9, v6, v1
	v_cvt_f64_f32_e32 v[1:2], v5
	s_delay_alu instid0(VALU_DEP_2) | instskip(NEXT) | instid1(VALU_DEP_1)
	v_add_f32_e32 v10, v7, v9
	v_fmaak_f32 v11, s3, v10, 0x3e91f4c4
	v_sub_f32_e32 v7, v10, v7
	v_mul_f32_e32 v14, v6, v10
	s_delay_alu instid0(VALU_DEP_3) | instskip(NEXT) | instid1(VALU_DEP_3)
	v_fmaak_f32 v11, v10, v11, 0x3ecccdef
	v_sub_f32_e32 v7, v9, v7
	s_delay_alu instid0(VALU_DEP_2) | instskip(NEXT) | instid1(VALU_DEP_1)
	v_mul_f32_e32 v12, v10, v11
	v_fma_f32 v9, v10, v11, -v12
	s_delay_alu instid0(VALU_DEP_1) | instskip(NEXT) | instid1(VALU_DEP_1)
	v_fmac_f32_e32 v9, v7, v11
	v_add_f32_e32 v11, v12, v9
	v_frexp_exp_i32_f64_e32 v1, v[1:2]
	s_delay_alu instid0(VALU_DEP_2) | instskip(NEXT) | instid1(VALU_DEP_1)
	v_sub_f32_e32 v12, v11, v12
	v_sub_f32_e32 v2, v9, v12
	v_fma_f32 v12, v10, v6, -v14
	s_delay_alu instid0(VALU_DEP_2) | instskip(NEXT) | instid1(VALU_DEP_2)
	v_add_f32_e32 v2, 0x31739010, v2
	v_dual_add_f32 v13, 0x3f2aaaaa, v11 :: v_dual_fmac_f32 v12, v10, v8
	v_ldexp_f32 v8, v8, 1
	s_delay_alu instid0(VALU_DEP_2) | instskip(NEXT) | instid1(VALU_DEP_1)
	v_dual_add_f32 v9, 0xbf2aaaaa, v13 :: v_dual_fmac_f32 v12, v7, v6
	v_sub_f32_e32 v9, v11, v9
	s_delay_alu instid0(VALU_DEP_1) | instskip(NEXT) | instid1(VALU_DEP_3)
	v_add_f32_e32 v2, v2, v9
	v_add_f32_e32 v9, v14, v12
	s_delay_alu instid0(VALU_DEP_2) | instskip(NEXT) | instid1(VALU_DEP_1)
	v_add_f32_e32 v7, v13, v2
	v_sub_f32_e32 v10, v13, v7
	s_delay_alu instid0(VALU_DEP_3) | instskip(SKIP_2) | instid1(VALU_DEP_4)
	v_mul_f32_e32 v11, v9, v7
	v_sub_f32_e32 v13, v9, v14
	v_subrev_co_ci_u32_e64 v1, s2, 0, v1, s2
	v_add_f32_e32 v2, v2, v10
	s_delay_alu instid0(VALU_DEP_4) | instskip(NEXT) | instid1(VALU_DEP_4)
	v_fma_f32 v10, v9, v7, -v11
	v_sub_f32_e32 v12, v12, v13
	s_delay_alu instid0(VALU_DEP_4) | instskip(NEXT) | instid1(VALU_DEP_3)
	v_cvt_f32_i32_e32 v1, v1
	v_fmac_f32_e32 v10, v9, v2
	v_ldexp_f32 v2, v6, 1
	s_delay_alu instid0(VALU_DEP_2) | instskip(NEXT) | instid1(VALU_DEP_1)
	v_fmac_f32_e32 v10, v12, v7
	v_add_f32_e32 v6, v11, v10
	s_delay_alu instid0(VALU_DEP_1) | instskip(NEXT) | instid1(VALU_DEP_1)
	v_add_f32_e32 v7, v2, v6
	v_dual_sub_f32 v2, v7, v2 :: v_dual_sub_f32 v9, v6, v11
	s_delay_alu instid0(VALU_DEP_1) | instskip(NEXT) | instid1(VALU_DEP_2)
	v_sub_f32_e32 v2, v6, v2
	v_sub_f32_e32 v9, v10, v9
	s_delay_alu instid0(VALU_DEP_1) | instskip(NEXT) | instid1(VALU_DEP_1)
	v_add_f32_e32 v6, v8, v9
	v_dual_mul_f32 v11, 0x3f317218, v1 :: v_dual_add_f32 v2, v6, v2
	s_delay_alu instid0(VALU_DEP_1) | instskip(NEXT) | instid1(VALU_DEP_2)
	v_fma_f32 v10, 0x3f317218, v1, -v11
	v_add_f32_e32 v8, v7, v2
	s_delay_alu instid0(VALU_DEP_1) | instskip(NEXT) | instid1(VALU_DEP_1)
	v_sub_f32_e32 v7, v8, v7
	v_dual_fmamk_f32 v1, v1, 0xb102e308, v10 :: v_dual_sub_f32 v2, v2, v7
	s_delay_alu instid0(VALU_DEP_1) | instskip(NEXT) | instid1(VALU_DEP_1)
	v_add_f32_e32 v6, v11, v1
	v_add_f32_e32 v9, v6, v8
	s_delay_alu instid0(VALU_DEP_1) | instskip(NEXT) | instid1(VALU_DEP_1)
	v_dual_sub_f32 v11, v6, v11 :: v_dual_sub_f32 v10, v9, v6
	v_sub_f32_e32 v12, v9, v10
	s_delay_alu instid0(VALU_DEP_2) | instskip(NEXT) | instid1(VALU_DEP_2)
	v_sub_f32_e32 v1, v1, v11
	v_dual_sub_f32 v7, v8, v10 :: v_dual_sub_f32 v6, v6, v12
	s_delay_alu instid0(VALU_DEP_2) | instskip(NEXT) | instid1(VALU_DEP_2)
	v_add_f32_e32 v8, v1, v2
	v_add_f32_e32 v6, v7, v6
	s_delay_alu instid0(VALU_DEP_1) | instskip(NEXT) | instid1(VALU_DEP_1)
	v_add_f32_e32 v6, v8, v6
	v_dual_sub_f32 v7, v8, v1 :: v_dual_add_f32 v10, v9, v6
	s_delay_alu instid0(VALU_DEP_1) | instskip(SKIP_1) | instid1(VALU_DEP_3)
	v_sub_f32_e32 v8, v8, v7
	v_sub_f32_e32 v2, v2, v7
	;; [unrolled: 1-line block ×3, first 2 shown]
	s_delay_alu instid0(VALU_DEP_3) | instskip(NEXT) | instid1(VALU_DEP_1)
	v_sub_f32_e32 v1, v1, v8
	v_add_f32_e32 v1, v2, v1
	s_delay_alu instid0(VALU_DEP_3) | instskip(NEXT) | instid1(VALU_DEP_1)
	v_sub_f32_e32 v2, v6, v7
	v_add_f32_e32 v1, v1, v2
	s_delay_alu instid0(VALU_DEP_1) | instskip(NEXT) | instid1(VALU_DEP_1)
	v_add_f32_e32 v2, v10, v1
	v_mul_f32_e32 v7, v4, v2
	v_sub_f32_e32 v6, v2, v10
	s_delay_alu instid0(VALU_DEP_2) | instskip(NEXT) | instid1(VALU_DEP_2)
	v_fma_f32 v2, v4, v2, -v7
	v_sub_f32_e32 v1, v1, v6
	v_cmp_class_f32_e64 s2, v7, 0x204
	s_delay_alu instid0(VALU_DEP_2) | instskip(NEXT) | instid1(VALU_DEP_1)
	v_fmac_f32_e32 v2, v4, v1
	v_add_f32_e32 v1, v7, v2
	s_delay_alu instid0(VALU_DEP_1) | instskip(NEXT) | instid1(VALU_DEP_1)
	v_cndmask_b32_e64 v6, v1, v7, s2
	v_cmp_eq_f32_e64 s2, 0x42b17218, v6
	s_delay_alu instid0(VALU_DEP_1) | instskip(SKIP_1) | instid1(VALU_DEP_2)
	v_cndmask_b32_e64 v8, 0, 0x37000000, s2
	v_cmp_neq_f32_e64 s2, 0x7f800000, |v6|
	v_sub_f32_e32 v9, v6, v8
	v_trunc_f32_e32 v6, v4
	s_delay_alu instid0(VALU_DEP_2) | instskip(NEXT) | instid1(VALU_DEP_1)
	v_mul_f32_e32 v10, 0x3fb8aa3b, v9
	v_fma_f32 v11, 0x3fb8aa3b, v9, -v10
	v_rndne_f32_e32 v12, v10
	s_delay_alu instid0(VALU_DEP_1) | instskip(NEXT) | instid1(VALU_DEP_1)
	v_dual_fmamk_f32 v11, v9, 0x32a5705f, v11 :: v_dual_sub_f32 v10, v10, v12
	v_add_f32_e32 v10, v10, v11
	v_sub_f32_e32 v1, v1, v7
	v_cvt_i32_f32_e32 v7, v12
	s_delay_alu instid0(VALU_DEP_3) | instskip(NEXT) | instid1(VALU_DEP_2)
	v_exp_f32_e32 v10, v10
	v_sub_f32_e32 v1, v2, v1
	s_delay_alu instid0(VALU_DEP_1)
	v_cndmask_b32_e64 v1, 0, v1, s2
	v_cmp_ngt_f32_e64 s2, 0xc2ce8ed0, v9
	s_waitcnt_depctr 0xfff
	v_ldexp_f32 v2, v10, v7
	v_mul_f32_e32 v7, 0.5, v4
	v_add_f32_e32 v1, v8, v1
	s_delay_alu instid0(VALU_DEP_3) | instskip(NEXT) | instid1(VALU_DEP_3)
	v_cndmask_b32_e64 v2, 0, v2, s2
	v_trunc_f32_e32 v10, v7
	v_cmp_nlt_f32_e64 s2, 0x42b17218, v9
	s_delay_alu instid0(VALU_DEP_2) | instskip(NEXT) | instid1(VALU_DEP_2)
	v_cmp_neq_f32_e64 s3, v10, v7
	v_cndmask_b32_e64 v2, 0x7f800000, v2, s2
	v_cmp_eq_f32_e64 s2, v6, v4
	s_delay_alu instid0(VALU_DEP_2) | instskip(NEXT) | instid1(VALU_DEP_2)
	v_fma_f32 v1, v2, v1, v2
	s_and_b32 vcc_lo, s2, s3
	v_cmp_class_f32_e64 s3, v2, 0x204
	v_cndmask_b32_e32 v6, 1.0, v3, vcc_lo
	s_delay_alu instid0(VALU_DEP_2) | instskip(SKIP_1) | instid1(VALU_DEP_2)
	v_cndmask_b32_e64 v1, v1, v2, s3
	v_cmp_gt_f32_e64 s3, 0, v4
	v_bfi_b32 v1, 0x7fffffff, v1, v6
	v_cndmask_b32_e32 v6, 0, v3, vcc_lo
	s_delay_alu instid0(VALU_DEP_3)
	s_xor_b32 s3, s3, s4
	v_cmp_eq_f32_e32 vcc_lo, 0x7f800000, v5
	v_cndmask_b32_e64 v2, 0x7f800000, 0, s3
	v_cndmask_b32_e64 v4, 0x7fc00000, v1, s2
	v_cmp_gt_f32_e64 s2, 0, v3
	s_or_b32 vcc_lo, vcc_lo, s4
	s_delay_alu instid0(VALU_DEP_3) | instskip(NEXT) | instid1(VALU_DEP_2)
	v_bfi_b32 v2, 0x7fffffff, v2, v6
	v_cndmask_b32_e64 v1, v1, v4, s2
	s_delay_alu instid0(VALU_DEP_1) | instskip(SKIP_1) | instid1(VALU_DEP_2)
	v_cndmask_b32_e32 v1, v1, v2, vcc_lo
	v_cmp_o_f32_e32 vcc_lo, v3, v3
	v_cndmask_b32_e32 v39, 0x7fc00000, v1, vcc_lo
.LBB27_2:
	s_clause 0x1
	s_load_b128 s[44:47], s[0:1], 0x70
	s_load_b512 s[16:31], s[0:1], 0x0
	v_and_b32_e32 v37, 0x3ff, v0
	v_mov_b32_e32 v41, 0
	s_delay_alu instid0(VALU_DEP_2) | instskip(NEXT) | instid1(VALU_DEP_1)
	v_lshlrev_b32_e32 v35, 2, v37
	v_and_b32_e32 v36, 28, v35
	s_delay_alu instid0(VALU_DEP_1)
	v_lshlrev_b32_e32 v5, 3, v36
	s_waitcnt lgkmcnt(0)
	s_mul_i32 s2, s12, s46
	s_mul_i32 s3, s13, s44
	;; [unrolled: 1-line block ×3, first 2 shown]
	s_add_i32 s2, s2, s3
	s_delay_alu instid0(SALU_CYCLE_1) | instskip(NEXT) | instid1(SALU_CYCLE_1)
	s_add_i32 s2, s2, s4
	s_ashr_i32 s3, s2, 31
	s_add_u32 s2, s16, s2
	s_addc_u32 s3, s17, s3
	s_clause 0x7
	global_load_b128 v[25:28], v5, s[2:3] offset:16
	global_load_b128 v[29:32], v5, s[2:3]
	global_load_b128 v[17:20], v5, s[2:3] offset:272
	global_load_b128 v[21:24], v5, s[2:3] offset:256
	;; [unrolled: 1-line block ×6, first 2 shown]
	s_cmp_eq_u64 s[26:27], 0
	s_cbranch_scc1 .LBB27_4
; %bb.3:
	s_load_b32 s2, s[0:1], 0xd0
	s_mov_b32 s3, 0
	s_waitcnt lgkmcnt(0)
	s_mul_i32 s2, s2, s12
	s_delay_alu instid0(SALU_CYCLE_1) | instskip(NEXT) | instid1(SALU_CYCLE_1)
	s_add_i32 s2, s2, s13
	s_lshl_b64 s[2:3], s[2:3], 2
	s_delay_alu instid0(SALU_CYCLE_1)
	s_add_u32 s2, s26, s2
	s_addc_u32 s3, s27, s3
	s_load_b32 s38, s[2:3], 0x0
.LBB27_4:
	v_bfe_u32 v38, v0, 10, 10
	v_dual_mov_b32 v99, 0xfeffffff :: v_dual_mov_b32 v52, 0
	v_mbcnt_lo_u32_b32 v0, -1, 0
	v_dual_mov_b32 v55, 0 :: v_dual_mov_b32 v54, 0
	s_delay_alu instid0(VALU_DEP_4) | instskip(SKIP_2) | instid1(VALU_DEP_3)
	v_dual_mov_b32 v56, 0 :: v_dual_lshlrev_b32 v77, 5, v38
	v_dual_mov_b32 v53, 0 :: v_dual_mov_b32 v50, 0
	v_dual_mov_b32 v49, 0 :: v_dual_mov_b32 v46, 0
	v_dual_mov_b32 v48, 0 :: v_dual_add_nc_u32 v33, v77, v37
	v_mov_b32_e32 v51, 0
	v_dual_mov_b32 v47, 0 :: v_dual_mov_b32 v44, 0
	s_delay_alu instid0(VALU_DEP_3)
	v_dual_mov_b32 v45, 0 :: v_dual_lshlrev_b32 v34, 1, v33
	v_dual_mov_b32 v42, 0 :: v_dual_mov_b32 v43, 0
	v_mov_b32_e32 v40, 0
	s_lshl_b32 s16, s14, 7
	s_mov_b32 s27, 0
	s_waitcnt lgkmcnt(0)
	s_cmp_ge_i32 s16, s38
	s_cbranch_scc1 .LBB27_56
; %bb.5:
	s_sub_i32 s2, 0, s33
	s_abs_i32 s37, s36
	s_mul_i32 s2, s2, s9
	v_cvt_f16_f32_e32 v40, s8
	s_mul_hi_u32 s2, s9, s2
	s_sub_i32 s3, 0, s15
	s_add_i32 s9, s9, s2
	s_mul_i32 s3, s3, s7
	s_mul_hi_u32 s2, s37, s9
	s_clause 0x1
	s_load_b64 s[42:43], s[0:1], 0x8c
	s_load_b128 s[8:11], s[0:1], 0x98
	s_mul_hi_u32 s3, s7, s3
	s_abs_i32 s4, s12
	s_add_i32 s7, s7, s3
	s_ashr_i32 s17, s12, 31
	s_mul_hi_u32 s26, s4, s7
	s_ashr_i32 s3, s36, 31
	s_ashr_i32 s6, s6, 31
	s_add_i32 s39, s2, 1
	s_xor_b32 s3, s3, s6
	s_waitcnt vmcnt(7)
	v_cvt_f16_f32_e32 v25, v25
	v_cvt_f16_f32_e32 v26, v26
	s_waitcnt vmcnt(3)
	v_cvt_f16_f32_e32 v9, v9
	v_cvt_f16_f32_e32 v10, v10
	;; [unrolled: 1-line block ×6, first 2 shown]
	v_pack_b32_f16 v25, v25, v26
	v_cvt_f16_f32_e32 v26, v27
	s_waitcnt lgkmcnt(0)
	s_mul_i32 s7, s12, s9
	s_mul_hi_u32 s9, s12, s8
	v_cvt_f16_f32_e32 v27, v28
	s_add_i32 s7, s9, s7
	s_mul_i32 s9, s17, s8
	v_cvt_f16_f32_e32 v21, v21
	s_add_i32 s9, s7, s9
	s_mul_i32 s7, s2, s33
	v_cvt_f16_f32_e32 v22, v22
	s_sub_i32 s37, s37, s7
	s_load_b64 s[6:7], s[0:1], 0xa8
	s_sub_i32 s40, s37, s33
	s_cmp_ge_u32 s37, s33
	v_cvt_f16_f32_e32 v23, v23
	s_cselect_b32 s2, s39, s2
	s_cselect_b32 s37, s40, s37
	s_add_i32 s39, s2, 1
	s_cmp_ge_u32 s37, s33
	v_cvt_f16_f32_e32 v24, v24
	s_cselect_b32 s2, s39, s2
	v_cvt_f16_f32_e32 v17, v17
	s_xor_b32 s2, s2, s3
	v_cvt_f16_f32_e32 v18, v18
	s_sub_i32 s33, s2, s3
	s_mul_i32 s3, s12, s8
	s_mul_i32 s2, s33, s43
	v_cvt_f16_f32_e32 v19, v19
	s_ashr_i32 s8, s2, 31
	s_add_u32 s3, s18, s3
	s_addc_u32 s9, s19, s9
	s_waitcnt lgkmcnt(0)
	s_mul_i32 s7, s12, s7
	s_mul_hi_u32 s18, s12, s6
	s_add_u32 s37, s3, s2
	v_cvt_f16_f32_e32 v20, v20
	s_waitcnt vmcnt(2)
	v_cvt_f16_f32_e32 v13, v13
	v_cvt_f16_f32_e32 v14, v14
	;; [unrolled: 1-line block ×4, first 2 shown]
	v_pack_b32_f16 v9, v9, v10
	v_cvt_f16_f32_e32 v10, v11
	v_cvt_f16_f32_e32 v11, v12
	s_waitcnt vmcnt(0)
	v_cvt_f16_f32_e32 v5, v5
	v_cvt_f16_f32_e32 v6, v6
	;; [unrolled: 1-line block ×6, first 2 shown]
	s_addc_u32 s8, s9, s8
	s_add_i32 s7, s18, s7
	s_mul_i32 s9, s17, s6
	s_mul_i32 s33, s33, s11
	v_dual_mov_b32 v98, 0xfeffffff :: v_dual_and_b32 v41, 24, v0
	s_mul_i32 s6, s12, s6
	s_add_i32 s7, s7, s9
	s_ashr_i32 s9, s33, 31
	s_clause 0x1
	s_load_b64 s[2:3], s[0:1], 0xc8
	s_load_b32 s39, s[0:1], 0xd4
	s_add_u32 s6, s20, s6
	s_addc_u32 s7, s21, s7
	s_mul_i32 s26, s26, s15
	v_pack_b32_f16 v29, v29, v30
	v_pack_b32_f16 v30, v31, v32
	;; [unrolled: 1-line block ×9, first 2 shown]
	v_cvt_f16_f32_e32 v3, v3
	v_cvt_f16_f32_e32 v4, v4
	v_pack_b32_f16 v10, v10, v11
	v_pack_b32_f16 v5, v5, v6
	;; [unrolled: 1-line block ×4, first 2 shown]
	s_add_u32 s6, s6, s33
	v_add_nc_u32_e32 v41, 8, v41
	v_xor_b32_e32 v42, 4, v0
	s_addc_u32 s7, s7, s9
	s_sub_i32 s4, s4, s26
	v_pack_b32_f16 v2, v3, v4
	s_sub_i32 s9, s4, s15
	s_cmp_ge_u32 s4, s15
	v_pk_mul_f16 v3, v40, v29 op_sel_hi:[0,1]
	v_pk_mul_f16 v4, v40, v30 op_sel_hi:[0,1]
	;; [unrolled: 1-line block ×15, first 2 shown]
	v_xor_b32_e32 v43, 2, v0
	v_cmp_lt_i32_e32 vcc_lo, v42, v41
	s_cselect_b32 s4, s9, s4
	v_pk_mul_f16 v40, v40, v2 op_sel_hi:[0,1]
	s_sub_i32 s9, s4, s15
	s_cmp_ge_u32 s4, s15
	v_dual_cndmask_b32 v42, v0, v42 :: v_dual_and_b32 v1, 0x78, v37
	v_lshrrev_b32_e32 v5, 16, v3
	v_lshrrev_b32_e32 v6, 16, v4
	;; [unrolled: 1-line block ×15, first 2 shown]
	v_xor_b32_e32 v44, 1, v0
	v_cmp_lt_i32_e32 vcc_lo, v43, v41
	s_cselect_b32 s4, s9, s4
	v_cvt_f32_f16_e32 v2, v3
	s_xor_b32 s4, s4, s17
	v_cvt_f32_f16_e32 v3, v5
	s_sub_i32 s4, s4, s17
	v_cvt_f32_f16_e32 v5, v6
	v_cvt_f32_f16_e32 v6, v7
	;; [unrolled: 1-line block ×18, first 2 shown]
	v_lshrrev_b32_e32 v40, 16, v40
	v_dual_cndmask_b32 v43, v0, v43 :: v_dual_lshlrev_b32 v60, 2, v42
	v_cmp_lt_i32_e32 vcc_lo, v44, v41
	s_waitcnt lgkmcnt(0)
	s_mul_i32 s3, s4, s3
	s_mul_hi_u32 s9, s4, s2
	s_ashr_i32 s11, s4, 31
	s_add_i32 s3, s9, s3
	s_mul_i32 s11, s11, s2
	s_mul_i32 s4, s4, s2
	v_add_nc_u32_e32 v1, v77, v1
	v_cndmask_b32_e32 v41, v0, v44, vcc_lo
	v_cvt_f32_f16_e32 v58, v40
	v_lshlrev_b32_e32 v40, 3, v37
	s_add_i32 s3, s3, s11
	s_add_u32 s2, s22, s4
	s_mul_i32 s4, s13, s5
	v_lshrrev_b32_e32 v42, 3, v37
	s_addc_u32 s3, s23, s3
	s_ashr_i32 s5, s4, 31
	s_mov_b32 s17, s27
	s_add_u32 s4, s2, s4
	v_lshlrev_b32_e32 v61, 2, v43
	v_dual_mov_b32 v50, 0 :: v_dual_and_b32 v43, 56, v40
	v_mov_b32_e32 v40, 0
	v_mul_lo_u32 v57, v1, s42
	s_addc_u32 s5, s3, s5
	s_lshl_b64 s[2:3], s[16:17], 1
	v_lshlrev_b32_e32 v62, 2, v41
	s_add_u32 s18, s4, s2
	s_mul_i32 s2, s16, s10
	v_dual_mov_b32 v48, 0 :: v_dual_and_b32 v41, 7, v37
	v_xor_b32_e32 v44, 8, v0
	v_dual_mov_b32 v56, 0 :: v_dual_add_nc_u32 v45, v42, v77
	v_or_b32_e32 v42, v77, v42
	s_addc_u32 s19, s5, s3
	s_add_u32 s15, s6, s2
	s_mul_i32 s2, s16, s42
	s_addc_u32 s17, s7, 0
	s_add_u32 s20, s37, s2
	s_addc_u32 s21, s8, 0
	v_add_nc_u32_e32 v59, s42, v57
	v_cmp_eq_u32_e64 s2, 7, v41
	v_cmp_eq_u32_e64 s3, 0, v41
	;; [unrolled: 1-line block ×8, first 2 shown]
	v_xor_b32_e32 v41, 16, v0
	v_cmp_gt_i32_e32 vcc_lo, 32, v44
	v_dual_mov_b32 v53, 0 :: v_dual_add_nc_u32 v46, 8, v45
	v_lshlrev_b32_e32 v79, 1, v42
	v_mul_lo_u32 v80, v42, s10
	v_or_b32_e32 v42, 16, v42
	v_cndmask_b32_e32 v44, v0, v44, vcc_lo
	v_cmp_gt_i32_e32 vcc_lo, 32, v41
	v_mul_lo_u32 v82, v46, s10
	v_add_nc_u32_e32 v46, 24, v45
	v_mul_lo_u32 v84, v42, s10
	v_dual_mov_b32 v42, 0 :: v_dual_add_nc_u32 v63, s42, v59
	v_cndmask_b32_e32 v41, v0, v41, vcc_lo
	v_dual_mov_b32 v52, 0 :: v_dual_lshlrev_b32 v77, 2, v44
	v_dual_mov_b32 v51, 0 :: v_dual_add_nc_u32 v44, 4, v45
	v_mul_lo_u32 v86, v46, s10
	v_mov_b32_e32 v46, 0
	v_add_nc_u32_e32 v64, s42, v63
	v_dual_mov_b32 v55, 0 :: v_dual_lshlrev_b32 v78, 2, v41
	v_mul_lo_u32 v81, v44, s10
	v_add_nc_u32_e32 v41, 12, v45
	s_delay_alu instid0(VALU_DEP_4)
	v_add_nc_u32_e32 v66, s42, v64
	v_add_nc_u32_e32 v44, 20, v45
	;; [unrolled: 1-line block ×3, first 2 shown]
	v_mov_b32_e32 v47, 0
	v_mul_lo_u32 v83, v41, s10
	v_mov_b32_e32 v41, 0
	v_mul_lo_u32 v85, v44, s10
	v_mul_lo_u32 v87, v45, s10
	v_dual_mov_b32 v45, 0 :: v_dual_add_nc_u32 v68, s42, v66
	v_mov_b32_e32 v54, 0
	s_cmp_lg_u64 s[22:23], 0
	v_cvt_f32_f16_e32 v4, v4
	v_cvt_f32_f16_e32 v8, v8
	v_add_nc_u32_e32 v71, s42, v68
	v_cvt_f32_f16_e32 v12, v12
	v_cvt_f32_f16_e32 v16, v16
	;; [unrolled: 1-line block ×4, first 2 shown]
	v_dual_mov_b32 v49, 0 :: v_dual_add_nc_u32 v74, s42, v71
	v_cvt_f32_f16_e32 v22, v22
	v_cvt_f32_f16_e32 v24, v24
	;; [unrolled: 1-line block ×5, first 2 shown]
	v_ashrrev_i32_e32 v65, 31, v57
	v_ashrrev_i32_e32 v67, 31, v59
	;; [unrolled: 1-line block ×16, first 2 shown]
	v_dual_mov_b32 v43, 0 :: v_dual_lshlrev_b32 v96, 1, v43
	v_mov_b32_e32 v44, 0
	s_cselect_b32 s22, -1, 0
	s_lshl_b32 s26, s39, 7
	s_mov_b32 s37, 0xbbbac73d
	s_mul_i32 s23, s26, s42
	s_mul_i32 s33, s26, s10
                                        ; implicit-def: $vgpr97
.LBB27_6:                               ; =>This Inner Loop Header: Depth=1
	v_lshlrev_b32_e32 v99, 2, v36
	s_delay_alu instid0(VALU_DEP_1) | instskip(NEXT) | instid1(VALU_DEP_1)
	v_add_co_u32 v102, s10, s20, v99
	v_add_co_ci_u32_e64 v103, null, s21, 0, s10
	s_delay_alu instid0(VALU_DEP_2) | instskip(NEXT) | instid1(VALU_DEP_2)
	v_add_co_u32 v99, vcc_lo, v102, v57
	v_add_co_ci_u32_e32 v100, vcc_lo, v103, v65, vcc_lo
	s_clause 0x3
	global_load_b128 v[104:107], v[99:100], off
	global_load_b128 v[108:111], v[99:100], off offset:128
	global_load_b128 v[112:115], v[99:100], off offset:256
	;; [unrolled: 1-line block ×3, first 2 shown]
	s_waitcnt vmcnt(3)
	v_lshlrev_b32_e32 v99, 16, v104
	v_and_b32_e32 v100, 0xffff0000, v104
	v_lshlrev_b32_e32 v101, 16, v105
	s_delay_alu instid0(VALU_DEP_3) | instskip(NEXT) | instid1(VALU_DEP_1)
	v_fma_f32 v99, v99, v2, 0
	v_dual_fmac_f32 v99, v100, v3 :: v_dual_and_b32 v100, 0xffff0000, v105
	s_delay_alu instid0(VALU_DEP_1) | instskip(SKIP_1) | instid1(VALU_DEP_2)
	v_fmac_f32_e32 v99, v101, v4
	v_lshlrev_b32_e32 v101, 16, v106
	v_dual_fmac_f32 v99, v100, v5 :: v_dual_and_b32 v100, 0xffff0000, v106
	s_delay_alu instid0(VALU_DEP_1) | instskip(SKIP_1) | instid1(VALU_DEP_2)
	v_fmac_f32_e32 v99, v101, v6
	v_lshlrev_b32_e32 v101, 16, v107
	v_fmac_f32_e32 v99, v100, v7
	s_delay_alu instid0(VALU_DEP_1) | instskip(SKIP_2) | instid1(VALU_DEP_2)
	v_dual_fmac_f32 v99, v101, v8 :: v_dual_and_b32 v100, 0xffff0000, v107
	s_waitcnt vmcnt(2)
	v_lshlrev_b32_e32 v101, 16, v108
	v_dual_fmac_f32 v99, v100, v9 :: v_dual_and_b32 v100, 0xffff0000, v108
	s_delay_alu instid0(VALU_DEP_1) | instskip(SKIP_1) | instid1(VALU_DEP_2)
	v_fmac_f32_e32 v99, v101, v10
	v_lshlrev_b32_e32 v101, 16, v109
	v_dual_fmac_f32 v99, v100, v11 :: v_dual_and_b32 v100, 0xffff0000, v109
	s_delay_alu instid0(VALU_DEP_1) | instskip(SKIP_1) | instid1(VALU_DEP_2)
	v_fmac_f32_e32 v99, v101, v12
	v_lshlrev_b32_e32 v101, 16, v110
	v_dual_fmac_f32 v99, v100, v13 :: v_dual_and_b32 v100, 0xffff0000, v110
	s_delay_alu instid0(VALU_DEP_1) | instskip(SKIP_1) | instid1(VALU_DEP_2)
	v_fmac_f32_e32 v99, v101, v14
	v_lshlrev_b32_e32 v101, 16, v111
	v_fmac_f32_e32 v99, v100, v15
	s_delay_alu instid0(VALU_DEP_1) | instskip(SKIP_2) | instid1(VALU_DEP_2)
	v_dual_fmac_f32 v99, v101, v16 :: v_dual_and_b32 v100, 0xffff0000, v111
	s_waitcnt vmcnt(1)
	v_lshlrev_b32_e32 v101, 16, v112
	v_dual_fmac_f32 v99, v100, v17 :: v_dual_and_b32 v100, 0xffff0000, v112
	s_delay_alu instid0(VALU_DEP_1) | instskip(SKIP_1) | instid1(VALU_DEP_2)
	v_fmac_f32_e32 v99, v101, v18
	v_lshlrev_b32_e32 v101, 16, v113
	v_dual_fmac_f32 v99, v100, v19 :: v_dual_and_b32 v100, 0xffff0000, v113
	s_delay_alu instid0(VALU_DEP_1) | instskip(SKIP_1) | instid1(VALU_DEP_2)
	v_fmac_f32_e32 v99, v101, v20
	v_lshlrev_b32_e32 v101, 16, v114
	v_dual_fmac_f32 v99, v100, v21 :: v_dual_and_b32 v100, 0xffff0000, v114
	s_delay_alu instid0(VALU_DEP_1) | instskip(SKIP_1) | instid1(VALU_DEP_2)
	v_fmac_f32_e32 v99, v101, v22
	v_lshlrev_b32_e32 v101, 16, v115
	v_fmac_f32_e32 v99, v100, v23
	s_delay_alu instid0(VALU_DEP_1) | instskip(SKIP_2) | instid1(VALU_DEP_2)
	v_dual_fmac_f32 v99, v101, v24 :: v_dual_and_b32 v100, 0xffff0000, v115
	s_waitcnt vmcnt(0)
	v_lshlrev_b32_e32 v101, 16, v116
	v_dual_fmac_f32 v99, v100, v25 :: v_dual_and_b32 v100, 0xffff0000, v116
	s_delay_alu instid0(VALU_DEP_1) | instskip(SKIP_1) | instid1(VALU_DEP_2)
	v_fmac_f32_e32 v99, v26, v101
	v_lshlrev_b32_e32 v101, 16, v117
	v_dual_fmac_f32 v99, v27, v100 :: v_dual_and_b32 v100, 0xffff0000, v117
	s_delay_alu instid0(VALU_DEP_1) | instskip(SKIP_1) | instid1(VALU_DEP_2)
	v_fmac_f32_e32 v99, v28, v101
	v_lshlrev_b32_e32 v101, 16, v118
	v_dual_fmac_f32 v99, v29, v100 :: v_dual_and_b32 v100, 0xffff0000, v118
	s_delay_alu instid0(VALU_DEP_1) | instskip(SKIP_1) | instid1(VALU_DEP_2)
	v_fmac_f32_e32 v99, v30, v101
	v_and_b32_e32 v101, 0xffff0000, v119
	v_dual_fmac_f32 v99, v31, v100 :: v_dual_lshlrev_b32 v100, 16, v119
	s_delay_alu instid0(VALU_DEP_1) | instskip(NEXT) | instid1(VALU_DEP_1)
	v_fmac_f32_e32 v99, v32, v100
	v_fmac_f32_e32 v99, v58, v101
	ds_bpermute_b32 v100, v60, v99
	s_waitcnt lgkmcnt(0)
	v_add_f32_e32 v99, v99, v100
	ds_bpermute_b32 v100, v61, v99
	s_waitcnt lgkmcnt(0)
	v_add_f32_e32 v99, v99, v100
	;; [unrolled: 3-line block ×3, first 2 shown]
                                        ; implicit-def: $vgpr100
	s_delay_alu instid0(VALU_DEP_1) | instskip(NEXT) | instid1(VALU_DEP_1)
	v_cmp_ngt_f32_e64 s10, 0x3f200000, |v99|
	s_and_saveexec_b32 s11, s10
	s_delay_alu instid0(SALU_CYCLE_1)
	s_xor_b32 s10, exec_lo, s11
	s_cbranch_execz .LBB27_8
; %bb.7:                                ;   in Loop: Header=BB27_6 Depth=1
	v_add_f32_e64 v100, |v99|, |v99|
	s_delay_alu instid0(VALU_DEP_1) | instskip(SKIP_1) | instid1(VALU_DEP_2)
	v_mul_f32_e32 v101, 0x3fb8aa3b, v100
	v_cmp_ngt_f32_e32 vcc_lo, 0xc2ce8ed0, v100
	v_rndne_f32_e32 v104, v101
	v_fma_f32 v105, 0x3fb8aa3b, v100, -v101
	s_delay_alu instid0(VALU_DEP_2) | instskip(NEXT) | instid1(VALU_DEP_2)
	v_sub_f32_e32 v101, v101, v104
	v_fmac_f32_e32 v105, 0x32a5705f, v100
	v_cvt_i32_f32_e32 v104, v104
	s_delay_alu instid0(VALU_DEP_2) | instskip(NEXT) | instid1(VALU_DEP_1)
	v_add_f32_e32 v101, v101, v105
	v_exp_f32_e32 v101, v101
	s_waitcnt_depctr 0xfff
	v_ldexp_f32 v101, v101, v104
	s_delay_alu instid0(VALU_DEP_1) | instskip(SKIP_1) | instid1(VALU_DEP_2)
	v_cndmask_b32_e32 v101, 0, v101, vcc_lo
	v_cmp_nlt_f32_e32 vcc_lo, 0x42b17218, v100
	v_cndmask_b32_e32 v100, 0x7f800000, v101, vcc_lo
	s_delay_alu instid0(VALU_DEP_1) | instskip(NEXT) | instid1(VALU_DEP_1)
	v_add_f32_e32 v100, 1.0, v100
	v_rcp_f32_e32 v100, v100
	s_waitcnt_depctr 0xfff
	v_fma_f32 v100, v100, -2.0, 1.0
.LBB27_8:                               ;   in Loop: Header=BB27_6 Depth=1
	s_and_not1_saveexec_b32 s10, s10
; %bb.9:                                ;   in Loop: Header=BB27_6 Depth=1
	v_mul_f32_e32 v100, v99, v99
	s_delay_alu instid0(VALU_DEP_1) | instskip(NEXT) | instid1(VALU_DEP_1)
	v_fmaak_f32 v101, s37, v100, 0x3ca908c9
	v_fmaak_f32 v101, v100, v101, 0xbd5c1c4e
	s_delay_alu instid0(VALU_DEP_1) | instskip(NEXT) | instid1(VALU_DEP_1)
	v_fmaak_f32 v101, v100, v101, 0x3e088382
	v_fmaak_f32 v101, v100, v101, 0xbeaaaa99
	s_delay_alu instid0(VALU_DEP_1) | instskip(NEXT) | instid1(VALU_DEP_1)
	v_mul_f32_e64 v101, |v99|, v101
	v_fma_f32 v100, v100, v101, |v99|
; %bb.10:                               ;   in Loop: Header=BB27_6 Depth=1
	s_or_b32 exec_lo, exec_lo, s10
	s_delay_alu instid0(VALU_DEP_1) | instskip(SKIP_1) | instid1(VALU_DEP_1)
	v_bfi_b32 v99, 0x7fffffff, v100, v99
	s_and_not1_b32 vcc_lo, exec_lo, s22
	v_dual_mul_f32 v99, s41, v99 :: v_dual_lshlrev_b32 v104, 1, v1
	s_cbranch_vccnz .LBB27_12
; %bb.11:                               ;   in Loop: Header=BB27_6 Depth=1
	global_load_u16 v100, v104, s[18:19]
	s_waitcnt vmcnt(0)
	v_fma_mix_f32 v99, v39, v100, v99 op_sel_hi:[0,1,0]
.LBB27_12:                              ;   in Loop: Header=BB27_6 Depth=1
	v_add_co_u32 v100, vcc_lo, v102, v59
	v_add_co_ci_u32_e32 v101, vcc_lo, v103, v67, vcc_lo
	s_clause 0x3
	global_load_b128 v[105:108], v[100:101], off
	global_load_b128 v[109:112], v[100:101], off offset:128
	global_load_b128 v[113:116], v[100:101], off offset:256
	;; [unrolled: 1-line block ×3, first 2 shown]
	s_waitcnt vmcnt(3)
	v_lshlrev_b32_e32 v100, 16, v105
	v_and_b32_e32 v101, 0xffff0000, v105
	s_delay_alu instid0(VALU_DEP_2) | instskip(NEXT) | instid1(VALU_DEP_1)
	v_fma_f32 v100, v100, v2, 0
	v_dual_fmac_f32 v100, v101, v3 :: v_dual_lshlrev_b32 v105, 16, v106
	s_delay_alu instid0(VALU_DEP_1) | instskip(NEXT) | instid1(VALU_DEP_1)
	v_dual_fmac_f32 v100, v105, v4 :: v_dual_and_b32 v101, 0xffff0000, v106
	v_dual_fmac_f32 v100, v101, v5 :: v_dual_lshlrev_b32 v105, 16, v107
	s_delay_alu instid0(VALU_DEP_1) | instskip(NEXT) | instid1(VALU_DEP_1)
	v_dual_fmac_f32 v100, v105, v6 :: v_dual_and_b32 v101, 0xffff0000, v107
	v_dual_fmac_f32 v100, v101, v7 :: v_dual_lshlrev_b32 v105, 16, v108
	s_waitcnt vmcnt(2)
	s_delay_alu instid0(VALU_DEP_1) | instskip(SKIP_1) | instid1(VALU_DEP_1)
	v_dual_fmac_f32 v100, v105, v8 :: v_dual_lshlrev_b32 v105, 16, v109
	v_and_b32_e32 v101, 0xffff0000, v108
	v_fmac_f32_e32 v100, v101, v9
	s_delay_alu instid0(VALU_DEP_1) | instskip(SKIP_2) | instid1(VALU_DEP_1)
	v_fmac_f32_e32 v100, v105, v10
	v_lshlrev_b32_e32 v105, 16, v110
	v_and_b32_e32 v101, 0xffff0000, v109
	v_dual_fmac_f32 v100, v101, v11 :: v_dual_and_b32 v101, 0xffff0000, v110
	s_delay_alu instid0(VALU_DEP_1) | instskip(NEXT) | instid1(VALU_DEP_1)
	v_dual_fmac_f32 v100, v105, v12 :: v_dual_lshlrev_b32 v105, 16, v111
	v_dual_fmac_f32 v100, v101, v13 :: v_dual_and_b32 v101, 0xffff0000, v111
	s_delay_alu instid0(VALU_DEP_1) | instskip(NEXT) | instid1(VALU_DEP_1)
	v_dual_fmac_f32 v100, v105, v14 :: v_dual_lshlrev_b32 v105, 16, v112
	v_fmac_f32_e32 v100, v101, v15
	s_waitcnt vmcnt(1)
	s_delay_alu instid0(VALU_DEP_1) | instskip(SKIP_1) | instid1(VALU_DEP_1)
	v_dual_fmac_f32 v100, v105, v16 :: v_dual_lshlrev_b32 v105, 16, v113
	v_and_b32_e32 v101, 0xffff0000, v112
	v_fmac_f32_e32 v100, v101, v17
	s_delay_alu instid0(VALU_DEP_1) | instskip(SKIP_2) | instid1(VALU_DEP_1)
	v_fmac_f32_e32 v100, v105, v18
	v_lshlrev_b32_e32 v105, 16, v114
	v_and_b32_e32 v101, 0xffff0000, v113
	v_dual_fmac_f32 v100, v101, v19 :: v_dual_and_b32 v101, 0xffff0000, v114
	s_delay_alu instid0(VALU_DEP_1) | instskip(NEXT) | instid1(VALU_DEP_1)
	v_dual_fmac_f32 v100, v105, v20 :: v_dual_lshlrev_b32 v105, 16, v115
	v_dual_fmac_f32 v100, v101, v21 :: v_dual_and_b32 v101, 0xffff0000, v115
	s_delay_alu instid0(VALU_DEP_1) | instskip(NEXT) | instid1(VALU_DEP_1)
	v_dual_fmac_f32 v100, v105, v22 :: v_dual_lshlrev_b32 v105, 16, v116
	v_fmac_f32_e32 v100, v101, v23
	s_waitcnt vmcnt(0)
	s_delay_alu instid0(VALU_DEP_1) | instskip(SKIP_1) | instid1(VALU_DEP_1)
	v_dual_fmac_f32 v100, v105, v24 :: v_dual_lshlrev_b32 v105, 16, v117
	v_and_b32_e32 v101, 0xffff0000, v116
	v_fmac_f32_e32 v100, v101, v25
	v_and_b32_e32 v101, 0xffff0000, v117
	s_delay_alu instid0(VALU_DEP_2) | instskip(NEXT) | instid1(VALU_DEP_1)
	v_dual_fmac_f32 v100, v26, v105 :: v_dual_lshlrev_b32 v105, 16, v118
	v_dual_fmac_f32 v100, v27, v101 :: v_dual_and_b32 v101, 0xffff0000, v118
	s_delay_alu instid0(VALU_DEP_1) | instskip(NEXT) | instid1(VALU_DEP_1)
	v_dual_fmac_f32 v100, v28, v105 :: v_dual_lshlrev_b32 v105, 16, v119
	v_dual_fmac_f32 v100, v29, v101 :: v_dual_and_b32 v101, 0xffff0000, v119
	s_delay_alu instid0(VALU_DEP_1) | instskip(NEXT) | instid1(VALU_DEP_1)
	v_dual_fmac_f32 v100, v30, v105 :: v_dual_and_b32 v105, 0xffff0000, v120
	v_dual_fmac_f32 v100, v31, v101 :: v_dual_lshlrev_b32 v101, 16, v120
	s_delay_alu instid0(VALU_DEP_1) | instskip(NEXT) | instid1(VALU_DEP_1)
	v_fmac_f32_e32 v100, v32, v101
	v_fmac_f32_e32 v100, v58, v105
	ds_bpermute_b32 v101, v60, v100
	s_waitcnt lgkmcnt(0)
	v_add_f32_e32 v100, v100, v101
	ds_bpermute_b32 v101, v61, v100
	s_waitcnt lgkmcnt(0)
	v_add_f32_e32 v100, v100, v101
	;; [unrolled: 3-line block ×3, first 2 shown]
                                        ; implicit-def: $vgpr101
	s_delay_alu instid0(VALU_DEP_1) | instskip(NEXT) | instid1(VALU_DEP_1)
	v_cmp_ngt_f32_e64 s10, 0x3f200000, |v100|
	s_and_saveexec_b32 s11, s10
	s_delay_alu instid0(SALU_CYCLE_1)
	s_xor_b32 s10, exec_lo, s11
	s_cbranch_execz .LBB27_14
; %bb.13:                               ;   in Loop: Header=BB27_6 Depth=1
	v_add_f32_e64 v101, |v100|, |v100|
	s_delay_alu instid0(VALU_DEP_1) | instskip(SKIP_1) | instid1(VALU_DEP_2)
	v_mul_f32_e32 v105, 0x3fb8aa3b, v101
	v_cmp_ngt_f32_e32 vcc_lo, 0xc2ce8ed0, v101
	v_rndne_f32_e32 v106, v105
	v_fma_f32 v107, 0x3fb8aa3b, v101, -v105
	s_delay_alu instid0(VALU_DEP_2) | instskip(NEXT) | instid1(VALU_DEP_2)
	v_sub_f32_e32 v105, v105, v106
	v_fmac_f32_e32 v107, 0x32a5705f, v101
	v_cvt_i32_f32_e32 v106, v106
	s_delay_alu instid0(VALU_DEP_2) | instskip(NEXT) | instid1(VALU_DEP_1)
	v_add_f32_e32 v105, v105, v107
	v_exp_f32_e32 v105, v105
	s_waitcnt_depctr 0xfff
	v_ldexp_f32 v105, v105, v106
	s_delay_alu instid0(VALU_DEP_1) | instskip(SKIP_1) | instid1(VALU_DEP_2)
	v_cndmask_b32_e32 v105, 0, v105, vcc_lo
	v_cmp_nlt_f32_e32 vcc_lo, 0x42b17218, v101
	v_cndmask_b32_e32 v101, 0x7f800000, v105, vcc_lo
	s_delay_alu instid0(VALU_DEP_1) | instskip(NEXT) | instid1(VALU_DEP_1)
	v_add_f32_e32 v101, 1.0, v101
	v_rcp_f32_e32 v101, v101
	s_waitcnt_depctr 0xfff
	v_fma_f32 v101, v101, -2.0, 1.0
.LBB27_14:                              ;   in Loop: Header=BB27_6 Depth=1
	s_and_not1_saveexec_b32 s10, s10
; %bb.15:                               ;   in Loop: Header=BB27_6 Depth=1
	v_mul_f32_e32 v101, v100, v100
	s_delay_alu instid0(VALU_DEP_1) | instskip(NEXT) | instid1(VALU_DEP_1)
	v_fmaak_f32 v105, s37, v101, 0x3ca908c9
	v_fmaak_f32 v105, v101, v105, 0xbd5c1c4e
	s_delay_alu instid0(VALU_DEP_1) | instskip(NEXT) | instid1(VALU_DEP_1)
	v_fmaak_f32 v105, v101, v105, 0x3e088382
	v_fmaak_f32 v105, v101, v105, 0xbeaaaa99
	s_delay_alu instid0(VALU_DEP_1) | instskip(NEXT) | instid1(VALU_DEP_1)
	v_mul_f32_e64 v105, |v100|, v105
	v_fma_f32 v101, v101, v105, |v100|
; %bb.16:                               ;   in Loop: Header=BB27_6 Depth=1
	s_or_b32 exec_lo, exec_lo, s10
	s_delay_alu instid0(VALU_DEP_1) | instskip(SKIP_1) | instid1(VALU_DEP_1)
	v_bfi_b32 v100, 0x7fffffff, v101, v100
	s_and_not1_b32 vcc_lo, exec_lo, s22
	v_mul_f32_e32 v100, s41, v100
	s_cbranch_vccnz .LBB27_18
; %bb.17:                               ;   in Loop: Header=BB27_6 Depth=1
	global_load_u16 v101, v104, s[18:19] offset:2
	s_waitcnt vmcnt(0)
	v_fma_mix_f32 v100, v39, v101, v100 op_sel_hi:[0,1,0]
.LBB27_18:                              ;   in Loop: Header=BB27_6 Depth=1
	v_add_co_u32 v117, vcc_lo, v102, v63
	v_add_co_ci_u32_e32 v118, vcc_lo, v103, v69, vcc_lo
	s_clause 0x3
	global_load_b128 v[105:108], v[117:118], off
	global_load_b128 v[109:112], v[117:118], off offset:128
	global_load_b128 v[113:116], v[117:118], off offset:256
	;; [unrolled: 1-line block ×3, first 2 shown]
	s_waitcnt vmcnt(3)
	v_lshlrev_b32_e32 v101, 16, v105
	v_and_b32_e32 v105, 0xffff0000, v105
	v_lshlrev_b32_e32 v121, 16, v106
	s_delay_alu instid0(VALU_DEP_3) | instskip(NEXT) | instid1(VALU_DEP_1)
	v_fma_f32 v101, v101, v2, 0
	v_fmac_f32_e32 v101, v105, v3
	v_and_b32_e32 v105, 0xffff0000, v106
	s_delay_alu instid0(VALU_DEP_2) | instskip(NEXT) | instid1(VALU_DEP_1)
	v_dual_fmac_f32 v101, v121, v4 :: v_dual_lshlrev_b32 v106, 16, v107
	v_fmac_f32_e32 v101, v105, v5
	v_and_b32_e32 v105, 0xffff0000, v107
	s_delay_alu instid0(VALU_DEP_2) | instskip(NEXT) | instid1(VALU_DEP_1)
	v_dual_fmac_f32 v101, v106, v6 :: v_dual_lshlrev_b32 v106, 16, v108
	v_fmac_f32_e32 v101, v105, v7
	v_and_b32_e32 v105, 0xffff0000, v108
	s_waitcnt vmcnt(2)
	s_delay_alu instid0(VALU_DEP_2) | instskip(NEXT) | instid1(VALU_DEP_1)
	v_dual_fmac_f32 v101, v106, v8 :: v_dual_lshlrev_b32 v106, 16, v109
	v_fmac_f32_e32 v101, v105, v9
	v_and_b32_e32 v105, 0xffff0000, v109
	s_delay_alu instid0(VALU_DEP_2) | instskip(NEXT) | instid1(VALU_DEP_1)
	v_fmac_f32_e32 v101, v106, v10
	v_dual_fmac_f32 v101, v105, v11 :: v_dual_lshlrev_b32 v106, 16, v110
	v_and_b32_e32 v105, 0xffff0000, v110
	s_delay_alu instid0(VALU_DEP_2) | instskip(NEXT) | instid1(VALU_DEP_1)
	v_dual_fmac_f32 v101, v106, v12 :: v_dual_lshlrev_b32 v106, 16, v111
	v_fmac_f32_e32 v101, v105, v13
	v_and_b32_e32 v105, 0xffff0000, v111
	s_delay_alu instid0(VALU_DEP_2) | instskip(NEXT) | instid1(VALU_DEP_1)
	v_dual_fmac_f32 v101, v106, v14 :: v_dual_lshlrev_b32 v106, 16, v112
	v_fmac_f32_e32 v101, v105, v15
	v_and_b32_e32 v105, 0xffff0000, v112
	s_waitcnt vmcnt(1)
	s_delay_alu instid0(VALU_DEP_2) | instskip(NEXT) | instid1(VALU_DEP_1)
	v_dual_fmac_f32 v101, v106, v16 :: v_dual_lshlrev_b32 v106, 16, v113
	v_fmac_f32_e32 v101, v105, v17
	v_and_b32_e32 v105, 0xffff0000, v113
	s_delay_alu instid0(VALU_DEP_2) | instskip(NEXT) | instid1(VALU_DEP_1)
	v_fmac_f32_e32 v101, v106, v18
	v_dual_fmac_f32 v101, v105, v19 :: v_dual_lshlrev_b32 v106, 16, v114
	;; [unrolled: 17-line block ×3, first 2 shown]
	v_and_b32_e32 v105, 0xffff0000, v118
	s_delay_alu instid0(VALU_DEP_2) | instskip(NEXT) | instid1(VALU_DEP_1)
	v_dual_fmac_f32 v101, v28, v106 :: v_dual_lshlrev_b32 v106, 16, v119
	v_fmac_f32_e32 v101, v29, v105
	v_and_b32_e32 v105, 0xffff0000, v119
	s_delay_alu instid0(VALU_DEP_2) | instskip(NEXT) | instid1(VALU_DEP_1)
	v_dual_fmac_f32 v101, v30, v106 :: v_dual_and_b32 v106, 0xffff0000, v120
	v_fmac_f32_e32 v101, v31, v105
	v_lshlrev_b32_e32 v105, 16, v120
	s_delay_alu instid0(VALU_DEP_1) | instskip(NEXT) | instid1(VALU_DEP_1)
	v_fmac_f32_e32 v101, v32, v105
	v_fmac_f32_e32 v101, v58, v106
	ds_bpermute_b32 v105, v60, v101
	s_waitcnt lgkmcnt(0)
	v_add_f32_e32 v101, v101, v105
	ds_bpermute_b32 v105, v61, v101
	s_waitcnt lgkmcnt(0)
	v_add_f32_e32 v101, v101, v105
	;; [unrolled: 3-line block ×3, first 2 shown]
                                        ; implicit-def: $vgpr105
	s_delay_alu instid0(VALU_DEP_1) | instskip(NEXT) | instid1(VALU_DEP_1)
	v_cmp_ngt_f32_e64 s10, 0x3f200000, |v101|
	s_and_saveexec_b32 s11, s10
	s_delay_alu instid0(SALU_CYCLE_1)
	s_xor_b32 s10, exec_lo, s11
	s_cbranch_execz .LBB27_20
; %bb.19:                               ;   in Loop: Header=BB27_6 Depth=1
	v_add_f32_e64 v105, |v101|, |v101|
	s_delay_alu instid0(VALU_DEP_1) | instskip(SKIP_1) | instid1(VALU_DEP_2)
	v_mul_f32_e32 v106, 0x3fb8aa3b, v105
	v_cmp_ngt_f32_e32 vcc_lo, 0xc2ce8ed0, v105
	v_rndne_f32_e32 v107, v106
	v_fma_f32 v108, 0x3fb8aa3b, v105, -v106
	s_delay_alu instid0(VALU_DEP_2) | instskip(NEXT) | instid1(VALU_DEP_2)
	v_sub_f32_e32 v106, v106, v107
	v_fmac_f32_e32 v108, 0x32a5705f, v105
	v_cvt_i32_f32_e32 v107, v107
	s_delay_alu instid0(VALU_DEP_2) | instskip(NEXT) | instid1(VALU_DEP_1)
	v_add_f32_e32 v106, v106, v108
	v_exp_f32_e32 v106, v106
	s_waitcnt_depctr 0xfff
	v_ldexp_f32 v106, v106, v107
	s_delay_alu instid0(VALU_DEP_1) | instskip(SKIP_1) | instid1(VALU_DEP_2)
	v_cndmask_b32_e32 v106, 0, v106, vcc_lo
	v_cmp_nlt_f32_e32 vcc_lo, 0x42b17218, v105
	v_cndmask_b32_e32 v105, 0x7f800000, v106, vcc_lo
	s_delay_alu instid0(VALU_DEP_1) | instskip(NEXT) | instid1(VALU_DEP_1)
	v_add_f32_e32 v105, 1.0, v105
	v_rcp_f32_e32 v105, v105
	s_waitcnt_depctr 0xfff
	v_fma_f32 v105, v105, -2.0, 1.0
.LBB27_20:                              ;   in Loop: Header=BB27_6 Depth=1
	s_and_not1_saveexec_b32 s10, s10
; %bb.21:                               ;   in Loop: Header=BB27_6 Depth=1
	v_mul_f32_e32 v105, v101, v101
	s_delay_alu instid0(VALU_DEP_1) | instskip(NEXT) | instid1(VALU_DEP_1)
	v_fmaak_f32 v106, s37, v105, 0x3ca908c9
	v_fmaak_f32 v106, v105, v106, 0xbd5c1c4e
	s_delay_alu instid0(VALU_DEP_1) | instskip(NEXT) | instid1(VALU_DEP_1)
	v_fmaak_f32 v106, v105, v106, 0x3e088382
	v_fmaak_f32 v106, v105, v106, 0xbeaaaa99
	s_delay_alu instid0(VALU_DEP_1) | instskip(NEXT) | instid1(VALU_DEP_1)
	v_mul_f32_e64 v106, |v101|, v106
	v_fma_f32 v105, v105, v106, |v101|
; %bb.22:                               ;   in Loop: Header=BB27_6 Depth=1
	s_or_b32 exec_lo, exec_lo, s10
	s_delay_alu instid0(VALU_DEP_1) | instskip(SKIP_1) | instid1(VALU_DEP_1)
	v_bfi_b32 v101, 0x7fffffff, v105, v101
	s_and_not1_b32 vcc_lo, exec_lo, s22
	v_mul_f32_e32 v101, s41, v101
	s_cbranch_vccnz .LBB27_24
; %bb.23:                               ;   in Loop: Header=BB27_6 Depth=1
	global_load_u16 v105, v104, s[18:19] offset:4
	s_waitcnt vmcnt(0)
	v_fma_mix_f32 v101, v39, v105, v101 op_sel_hi:[0,1,0]
.LBB27_24:                              ;   in Loop: Header=BB27_6 Depth=1
	v_add_co_u32 v117, vcc_lo, v102, v64
	v_add_co_ci_u32_e32 v118, vcc_lo, v103, v70, vcc_lo
	s_clause 0x3
	global_load_b128 v[105:108], v[117:118], off
	global_load_b128 v[109:112], v[117:118], off offset:128
	global_load_b128 v[113:116], v[117:118], off offset:256
	;; [unrolled: 1-line block ×3, first 2 shown]
	s_waitcnt vmcnt(3)
	v_lshlrev_b32_e32 v121, 16, v105
	v_and_b32_e32 v105, 0xffff0000, v105
	s_delay_alu instid0(VALU_DEP_2) | instskip(NEXT) | instid1(VALU_DEP_1)
	v_fma_f32 v121, v121, v2, 0
	v_dual_fmac_f32 v121, v105, v3 :: v_dual_lshlrev_b32 v122, 16, v106
	v_and_b32_e32 v105, 0xffff0000, v106
	s_delay_alu instid0(VALU_DEP_2) | instskip(NEXT) | instid1(VALU_DEP_1)
	v_dual_fmac_f32 v121, v122, v4 :: v_dual_lshlrev_b32 v106, 16, v107
	v_fmac_f32_e32 v121, v105, v5
	v_and_b32_e32 v105, 0xffff0000, v107
	s_delay_alu instid0(VALU_DEP_2) | instskip(NEXT) | instid1(VALU_DEP_1)
	v_dual_fmac_f32 v121, v106, v6 :: v_dual_lshlrev_b32 v106, 16, v108
	v_fmac_f32_e32 v121, v105, v7
	v_and_b32_e32 v105, 0xffff0000, v108
	s_waitcnt vmcnt(2)
	s_delay_alu instid0(VALU_DEP_2) | instskip(NEXT) | instid1(VALU_DEP_1)
	v_dual_fmac_f32 v121, v106, v8 :: v_dual_lshlrev_b32 v106, 16, v109
	v_fmac_f32_e32 v121, v105, v9
	v_and_b32_e32 v105, 0xffff0000, v109
	s_delay_alu instid0(VALU_DEP_2) | instskip(NEXT) | instid1(VALU_DEP_1)
	v_fmac_f32_e32 v121, v106, v10
	v_dual_fmac_f32 v121, v105, v11 :: v_dual_lshlrev_b32 v106, 16, v110
	v_and_b32_e32 v105, 0xffff0000, v110
	s_delay_alu instid0(VALU_DEP_2) | instskip(NEXT) | instid1(VALU_DEP_1)
	v_dual_fmac_f32 v121, v106, v12 :: v_dual_lshlrev_b32 v106, 16, v111
	v_fmac_f32_e32 v121, v105, v13
	v_and_b32_e32 v105, 0xffff0000, v111
	s_delay_alu instid0(VALU_DEP_2) | instskip(NEXT) | instid1(VALU_DEP_1)
	v_dual_fmac_f32 v121, v106, v14 :: v_dual_lshlrev_b32 v106, 16, v112
	v_fmac_f32_e32 v121, v105, v15
	v_and_b32_e32 v105, 0xffff0000, v112
	s_waitcnt vmcnt(1)
	s_delay_alu instid0(VALU_DEP_2) | instskip(NEXT) | instid1(VALU_DEP_1)
	v_dual_fmac_f32 v121, v106, v16 :: v_dual_lshlrev_b32 v106, 16, v113
	v_fmac_f32_e32 v121, v105, v17
	v_and_b32_e32 v105, 0xffff0000, v113
	s_delay_alu instid0(VALU_DEP_2) | instskip(NEXT) | instid1(VALU_DEP_1)
	v_fmac_f32_e32 v121, v106, v18
	;; [unrolled: 17-line block ×3, first 2 shown]
	v_dual_fmac_f32 v121, v27, v105 :: v_dual_lshlrev_b32 v106, 16, v118
	v_and_b32_e32 v105, 0xffff0000, v118
	s_delay_alu instid0(VALU_DEP_2) | instskip(NEXT) | instid1(VALU_DEP_1)
	v_dual_fmac_f32 v121, v28, v106 :: v_dual_lshlrev_b32 v106, 16, v119
	v_fmac_f32_e32 v121, v29, v105
	v_and_b32_e32 v105, 0xffff0000, v119
	s_delay_alu instid0(VALU_DEP_2) | instskip(NEXT) | instid1(VALU_DEP_1)
	v_dual_fmac_f32 v121, v30, v106 :: v_dual_and_b32 v106, 0xffff0000, v120
	v_fmac_f32_e32 v121, v31, v105
	v_lshlrev_b32_e32 v105, 16, v120
	s_delay_alu instid0(VALU_DEP_1) | instskip(NEXT) | instid1(VALU_DEP_1)
	v_fmac_f32_e32 v121, v32, v105
	v_fmac_f32_e32 v121, v58, v106
	ds_bpermute_b32 v105, v60, v121
	s_waitcnt lgkmcnt(0)
	v_add_f32_e32 v105, v121, v105
	ds_bpermute_b32 v106, v61, v105
	s_waitcnt lgkmcnt(0)
	v_add_f32_e32 v105, v105, v106
	;; [unrolled: 3-line block ×3, first 2 shown]
                                        ; implicit-def: $vgpr106
	s_delay_alu instid0(VALU_DEP_1) | instskip(NEXT) | instid1(VALU_DEP_1)
	v_cmp_ngt_f32_e64 s10, 0x3f200000, |v105|
	s_and_saveexec_b32 s11, s10
	s_delay_alu instid0(SALU_CYCLE_1)
	s_xor_b32 s10, exec_lo, s11
	s_cbranch_execz .LBB27_26
; %bb.25:                               ;   in Loop: Header=BB27_6 Depth=1
	v_add_f32_e64 v106, |v105|, |v105|
	s_delay_alu instid0(VALU_DEP_1) | instskip(SKIP_1) | instid1(VALU_DEP_2)
	v_mul_f32_e32 v107, 0x3fb8aa3b, v106
	v_cmp_ngt_f32_e32 vcc_lo, 0xc2ce8ed0, v106
	v_rndne_f32_e32 v108, v107
	v_fma_f32 v109, 0x3fb8aa3b, v106, -v107
	s_delay_alu instid0(VALU_DEP_2) | instskip(NEXT) | instid1(VALU_DEP_2)
	v_sub_f32_e32 v107, v107, v108
	v_fmac_f32_e32 v109, 0x32a5705f, v106
	v_cvt_i32_f32_e32 v108, v108
	s_delay_alu instid0(VALU_DEP_2) | instskip(NEXT) | instid1(VALU_DEP_1)
	v_add_f32_e32 v107, v107, v109
	v_exp_f32_e32 v107, v107
	s_waitcnt_depctr 0xfff
	v_ldexp_f32 v107, v107, v108
	s_delay_alu instid0(VALU_DEP_1) | instskip(SKIP_1) | instid1(VALU_DEP_2)
	v_cndmask_b32_e32 v107, 0, v107, vcc_lo
	v_cmp_nlt_f32_e32 vcc_lo, 0x42b17218, v106
	v_cndmask_b32_e32 v106, 0x7f800000, v107, vcc_lo
	s_delay_alu instid0(VALU_DEP_1) | instskip(NEXT) | instid1(VALU_DEP_1)
	v_add_f32_e32 v106, 1.0, v106
	v_rcp_f32_e32 v106, v106
	s_waitcnt_depctr 0xfff
	v_fma_f32 v106, v106, -2.0, 1.0
.LBB27_26:                              ;   in Loop: Header=BB27_6 Depth=1
	s_and_not1_saveexec_b32 s10, s10
; %bb.27:                               ;   in Loop: Header=BB27_6 Depth=1
	v_mul_f32_e32 v106, v105, v105
	s_delay_alu instid0(VALU_DEP_1) | instskip(NEXT) | instid1(VALU_DEP_1)
	v_fmaak_f32 v107, s37, v106, 0x3ca908c9
	v_fmaak_f32 v107, v106, v107, 0xbd5c1c4e
	s_delay_alu instid0(VALU_DEP_1) | instskip(NEXT) | instid1(VALU_DEP_1)
	v_fmaak_f32 v107, v106, v107, 0x3e088382
	v_fmaak_f32 v107, v106, v107, 0xbeaaaa99
	s_delay_alu instid0(VALU_DEP_1) | instskip(NEXT) | instid1(VALU_DEP_1)
	v_mul_f32_e64 v107, |v105|, v107
	v_fma_f32 v106, v106, v107, |v105|
; %bb.28:                               ;   in Loop: Header=BB27_6 Depth=1
	s_or_b32 exec_lo, exec_lo, s10
	s_delay_alu instid0(VALU_DEP_1) | instskip(SKIP_1) | instid1(VALU_DEP_1)
	v_bfi_b32 v105, 0x7fffffff, v106, v105
	s_and_not1_b32 vcc_lo, exec_lo, s22
	v_mul_f32_e32 v105, s41, v105
	s_cbranch_vccnz .LBB27_30
; %bb.29:                               ;   in Loop: Header=BB27_6 Depth=1
	global_load_u16 v106, v104, s[18:19] offset:6
	s_waitcnt vmcnt(0)
	v_fma_mix_f32 v105, v39, v106, v105 op_sel_hi:[0,1,0]
.LBB27_30:                              ;   in Loop: Header=BB27_6 Depth=1
	v_add_co_u32 v118, vcc_lo, v102, v66
	v_add_co_ci_u32_e32 v119, vcc_lo, v103, v72, vcc_lo
	s_clause 0x3
	global_load_b128 v[106:109], v[118:119], off
	global_load_b128 v[110:113], v[118:119], off offset:128
	global_load_b128 v[114:117], v[118:119], off offset:256
	;; [unrolled: 1-line block ×3, first 2 shown]
	s_waitcnt vmcnt(3)
	v_lshlrev_b32_e32 v122, 16, v106
	v_and_b32_e32 v106, 0xffff0000, v106
	s_delay_alu instid0(VALU_DEP_2) | instskip(NEXT) | instid1(VALU_DEP_1)
	v_fma_f32 v122, v122, v2, 0
	v_fmac_f32_e32 v122, v106, v3
	v_and_b32_e32 v106, 0xffff0000, v107
	v_lshlrev_b32_e32 v123, 16, v107
	v_lshlrev_b32_e32 v107, 16, v108
	s_delay_alu instid0(VALU_DEP_2) | instskip(NEXT) | instid1(VALU_DEP_1)
	v_fmac_f32_e32 v122, v123, v4
	v_fmac_f32_e32 v122, v106, v5
	v_and_b32_e32 v106, 0xffff0000, v108
	s_delay_alu instid0(VALU_DEP_2) | instskip(NEXT) | instid1(VALU_DEP_1)
	v_dual_fmac_f32 v122, v107, v6 :: v_dual_lshlrev_b32 v107, 16, v109
	v_fmac_f32_e32 v122, v106, v7
	v_and_b32_e32 v106, 0xffff0000, v109
	s_waitcnt vmcnt(2)
	s_delay_alu instid0(VALU_DEP_2) | instskip(NEXT) | instid1(VALU_DEP_1)
	v_dual_fmac_f32 v122, v107, v8 :: v_dual_lshlrev_b32 v107, 16, v110
	v_fmac_f32_e32 v122, v106, v9
	v_and_b32_e32 v106, 0xffff0000, v110
	s_delay_alu instid0(VALU_DEP_2) | instskip(NEXT) | instid1(VALU_DEP_1)
	v_dual_fmac_f32 v122, v107, v10 :: v_dual_lshlrev_b32 v107, 16, v111
	v_fmac_f32_e32 v122, v106, v11
	v_and_b32_e32 v106, 0xffff0000, v111
	s_delay_alu instid0(VALU_DEP_2) | instskip(NEXT) | instid1(VALU_DEP_1)
	v_fmac_f32_e32 v122, v107, v12
	v_dual_fmac_f32 v122, v106, v13 :: v_dual_lshlrev_b32 v107, 16, v112
	v_and_b32_e32 v106, 0xffff0000, v112
	s_delay_alu instid0(VALU_DEP_2) | instskip(NEXT) | instid1(VALU_DEP_1)
	v_dual_fmac_f32 v122, v107, v14 :: v_dual_lshlrev_b32 v107, 16, v113
	v_fmac_f32_e32 v122, v106, v15
	v_and_b32_e32 v106, 0xffff0000, v113
	s_waitcnt vmcnt(1)
	s_delay_alu instid0(VALU_DEP_2) | instskip(NEXT) | instid1(VALU_DEP_1)
	v_dual_fmac_f32 v122, v107, v16 :: v_dual_lshlrev_b32 v107, 16, v114
	v_fmac_f32_e32 v122, v106, v17
	v_and_b32_e32 v106, 0xffff0000, v114
	s_delay_alu instid0(VALU_DEP_2) | instskip(NEXT) | instid1(VALU_DEP_1)
	v_dual_fmac_f32 v122, v107, v18 :: v_dual_lshlrev_b32 v107, 16, v115
	v_fmac_f32_e32 v122, v106, v19
	v_and_b32_e32 v106, 0xffff0000, v115
	s_delay_alu instid0(VALU_DEP_2) | instskip(NEXT) | instid1(VALU_DEP_1)
	v_fmac_f32_e32 v122, v107, v20
	v_dual_fmac_f32 v122, v106, v21 :: v_dual_lshlrev_b32 v107, 16, v116
	v_and_b32_e32 v106, 0xffff0000, v116
	s_delay_alu instid0(VALU_DEP_2) | instskip(NEXT) | instid1(VALU_DEP_1)
	v_dual_fmac_f32 v122, v107, v22 :: v_dual_lshlrev_b32 v107, 16, v117
	v_fmac_f32_e32 v122, v106, v23
	v_and_b32_e32 v106, 0xffff0000, v117
	s_waitcnt vmcnt(0)
	s_delay_alu instid0(VALU_DEP_2) | instskip(NEXT) | instid1(VALU_DEP_1)
	v_dual_fmac_f32 v122, v107, v24 :: v_dual_lshlrev_b32 v107, 16, v118
	v_fmac_f32_e32 v122, v106, v25
	v_and_b32_e32 v106, 0xffff0000, v118
	s_delay_alu instid0(VALU_DEP_2) | instskip(NEXT) | instid1(VALU_DEP_1)
	v_fmac_f32_e32 v122, v26, v107
	v_dual_fmac_f32 v122, v27, v106 :: v_dual_lshlrev_b32 v107, 16, v119
	v_and_b32_e32 v106, 0xffff0000, v119
	s_delay_alu instid0(VALU_DEP_2) | instskip(NEXT) | instid1(VALU_DEP_1)
	v_dual_fmac_f32 v122, v28, v107 :: v_dual_lshlrev_b32 v107, 16, v120
	v_fmac_f32_e32 v122, v29, v106
	v_and_b32_e32 v106, 0xffff0000, v120
	s_delay_alu instid0(VALU_DEP_2) | instskip(NEXT) | instid1(VALU_DEP_1)
	v_dual_fmac_f32 v122, v30, v107 :: v_dual_and_b32 v107, 0xffff0000, v121
	v_fmac_f32_e32 v122, v31, v106
	v_lshlrev_b32_e32 v106, 16, v121
	s_delay_alu instid0(VALU_DEP_1) | instskip(NEXT) | instid1(VALU_DEP_1)
	v_fmac_f32_e32 v122, v32, v106
	v_fmac_f32_e32 v122, v58, v107
	ds_bpermute_b32 v106, v60, v122
	s_waitcnt lgkmcnt(0)
	v_add_f32_e32 v106, v122, v106
	ds_bpermute_b32 v107, v61, v106
	s_waitcnt lgkmcnt(0)
	v_add_f32_e32 v106, v106, v107
	;; [unrolled: 3-line block ×3, first 2 shown]
                                        ; implicit-def: $vgpr107
	s_delay_alu instid0(VALU_DEP_1) | instskip(NEXT) | instid1(VALU_DEP_1)
	v_cmp_ngt_f32_e64 s10, 0x3f200000, |v106|
	s_and_saveexec_b32 s11, s10
	s_delay_alu instid0(SALU_CYCLE_1)
	s_xor_b32 s10, exec_lo, s11
	s_cbranch_execz .LBB27_32
; %bb.31:                               ;   in Loop: Header=BB27_6 Depth=1
	v_add_f32_e64 v107, |v106|, |v106|
	s_delay_alu instid0(VALU_DEP_1) | instskip(SKIP_1) | instid1(VALU_DEP_2)
	v_mul_f32_e32 v108, 0x3fb8aa3b, v107
	v_cmp_ngt_f32_e32 vcc_lo, 0xc2ce8ed0, v107
	v_rndne_f32_e32 v109, v108
	v_fma_f32 v110, 0x3fb8aa3b, v107, -v108
	s_delay_alu instid0(VALU_DEP_2) | instskip(NEXT) | instid1(VALU_DEP_2)
	v_sub_f32_e32 v108, v108, v109
	v_fmac_f32_e32 v110, 0x32a5705f, v107
	v_cvt_i32_f32_e32 v109, v109
	s_delay_alu instid0(VALU_DEP_2) | instskip(NEXT) | instid1(VALU_DEP_1)
	v_add_f32_e32 v108, v108, v110
	v_exp_f32_e32 v108, v108
	s_waitcnt_depctr 0xfff
	v_ldexp_f32 v108, v108, v109
	s_delay_alu instid0(VALU_DEP_1) | instskip(SKIP_1) | instid1(VALU_DEP_2)
	v_cndmask_b32_e32 v108, 0, v108, vcc_lo
	v_cmp_nlt_f32_e32 vcc_lo, 0x42b17218, v107
	v_cndmask_b32_e32 v107, 0x7f800000, v108, vcc_lo
	s_delay_alu instid0(VALU_DEP_1) | instskip(NEXT) | instid1(VALU_DEP_1)
	v_add_f32_e32 v107, 1.0, v107
	v_rcp_f32_e32 v107, v107
	s_waitcnt_depctr 0xfff
	v_fma_f32 v107, v107, -2.0, 1.0
.LBB27_32:                              ;   in Loop: Header=BB27_6 Depth=1
	s_and_not1_saveexec_b32 s10, s10
; %bb.33:                               ;   in Loop: Header=BB27_6 Depth=1
	v_mul_f32_e32 v107, v106, v106
	s_delay_alu instid0(VALU_DEP_1) | instskip(NEXT) | instid1(VALU_DEP_1)
	v_fmaak_f32 v108, s37, v107, 0x3ca908c9
	v_fmaak_f32 v108, v107, v108, 0xbd5c1c4e
	s_delay_alu instid0(VALU_DEP_1) | instskip(NEXT) | instid1(VALU_DEP_1)
	v_fmaak_f32 v108, v107, v108, 0x3e088382
	v_fmaak_f32 v108, v107, v108, 0xbeaaaa99
	s_delay_alu instid0(VALU_DEP_1) | instskip(NEXT) | instid1(VALU_DEP_1)
	v_mul_f32_e64 v108, |v106|, v108
	v_fma_f32 v107, v107, v108, |v106|
; %bb.34:                               ;   in Loop: Header=BB27_6 Depth=1
	s_or_b32 exec_lo, exec_lo, s10
	s_delay_alu instid0(VALU_DEP_1) | instskip(SKIP_1) | instid1(VALU_DEP_1)
	v_bfi_b32 v106, 0x7fffffff, v107, v106
	s_and_not1_b32 vcc_lo, exec_lo, s22
	v_mul_f32_e32 v106, s41, v106
	s_cbranch_vccnz .LBB27_36
; %bb.35:                               ;   in Loop: Header=BB27_6 Depth=1
	global_load_u16 v107, v104, s[18:19] offset:8
	s_waitcnt vmcnt(0)
	v_fma_mix_f32 v106, v39, v107, v106 op_sel_hi:[0,1,0]
.LBB27_36:                              ;   in Loop: Header=BB27_6 Depth=1
	v_add_co_u32 v119, vcc_lo, v102, v68
	v_add_co_ci_u32_e32 v120, vcc_lo, v103, v73, vcc_lo
	s_clause 0x3
	global_load_b128 v[107:110], v[119:120], off
	global_load_b128 v[111:114], v[119:120], off offset:128
	global_load_b128 v[115:118], v[119:120], off offset:256
	;; [unrolled: 1-line block ×3, first 2 shown]
	s_waitcnt vmcnt(3)
	v_lshlrev_b32_e32 v123, 16, v107
	v_and_b32_e32 v107, 0xffff0000, v107
	s_delay_alu instid0(VALU_DEP_2) | instskip(NEXT) | instid1(VALU_DEP_1)
	v_fma_f32 v123, v123, v2, 0
	v_dual_fmac_f32 v123, v107, v3 :: v_dual_lshlrev_b32 v124, 16, v108
	v_and_b32_e32 v107, 0xffff0000, v108
	s_delay_alu instid0(VALU_DEP_2) | instskip(NEXT) | instid1(VALU_DEP_1)
	v_dual_fmac_f32 v123, v124, v4 :: v_dual_lshlrev_b32 v108, 16, v109
	v_fmac_f32_e32 v123, v107, v5
	v_and_b32_e32 v107, 0xffff0000, v109
	s_delay_alu instid0(VALU_DEP_2) | instskip(NEXT) | instid1(VALU_DEP_1)
	v_fmac_f32_e32 v123, v108, v6
	v_dual_fmac_f32 v123, v107, v7 :: v_dual_lshlrev_b32 v108, 16, v110
	v_and_b32_e32 v107, 0xffff0000, v110
	s_waitcnt vmcnt(2)
	s_delay_alu instid0(VALU_DEP_2) | instskip(NEXT) | instid1(VALU_DEP_1)
	v_dual_fmac_f32 v123, v108, v8 :: v_dual_lshlrev_b32 v108, 16, v111
	v_fmac_f32_e32 v123, v107, v9
	v_and_b32_e32 v107, 0xffff0000, v111
	s_delay_alu instid0(VALU_DEP_2) | instskip(NEXT) | instid1(VALU_DEP_1)
	v_dual_fmac_f32 v123, v108, v10 :: v_dual_lshlrev_b32 v108, 16, v112
	v_fmac_f32_e32 v123, v107, v11
	v_and_b32_e32 v107, 0xffff0000, v112
	;; [unrolled: 4-line block ×3, first 2 shown]
	s_delay_alu instid0(VALU_DEP_2) | instskip(NEXT) | instid1(VALU_DEP_1)
	v_fmac_f32_e32 v123, v108, v14
	v_dual_fmac_f32 v123, v107, v15 :: v_dual_lshlrev_b32 v108, 16, v114
	v_and_b32_e32 v107, 0xffff0000, v114
	s_waitcnt vmcnt(1)
	s_delay_alu instid0(VALU_DEP_2) | instskip(NEXT) | instid1(VALU_DEP_1)
	v_dual_fmac_f32 v123, v108, v16 :: v_dual_lshlrev_b32 v108, 16, v115
	v_fmac_f32_e32 v123, v107, v17
	v_and_b32_e32 v107, 0xffff0000, v115
	s_delay_alu instid0(VALU_DEP_2) | instskip(NEXT) | instid1(VALU_DEP_1)
	v_dual_fmac_f32 v123, v108, v18 :: v_dual_lshlrev_b32 v108, 16, v116
	v_fmac_f32_e32 v123, v107, v19
	v_and_b32_e32 v107, 0xffff0000, v116
	s_delay_alu instid0(VALU_DEP_2) | instskip(NEXT) | instid1(VALU_DEP_1)
	v_dual_fmac_f32 v123, v108, v20 :: v_dual_lshlrev_b32 v108, 16, v117
	v_fmac_f32_e32 v123, v107, v21
	v_and_b32_e32 v107, 0xffff0000, v117
	s_delay_alu instid0(VALU_DEP_2) | instskip(NEXT) | instid1(VALU_DEP_1)
	v_fmac_f32_e32 v123, v108, v22
	v_dual_fmac_f32 v123, v107, v23 :: v_dual_lshlrev_b32 v108, 16, v118
	v_and_b32_e32 v107, 0xffff0000, v118
	s_waitcnt vmcnt(0)
	s_delay_alu instid0(VALU_DEP_2) | instskip(NEXT) | instid1(VALU_DEP_1)
	v_dual_fmac_f32 v123, v108, v24 :: v_dual_lshlrev_b32 v108, 16, v119
	v_fmac_f32_e32 v123, v107, v25
	v_and_b32_e32 v107, 0xffff0000, v119
	s_delay_alu instid0(VALU_DEP_2) | instskip(NEXT) | instid1(VALU_DEP_1)
	v_fmac_f32_e32 v123, v26, v108
	v_dual_fmac_f32 v123, v27, v107 :: v_dual_lshlrev_b32 v108, 16, v120
	v_and_b32_e32 v107, 0xffff0000, v120
	s_delay_alu instid0(VALU_DEP_2) | instskip(NEXT) | instid1(VALU_DEP_1)
	v_dual_fmac_f32 v123, v28, v108 :: v_dual_lshlrev_b32 v108, 16, v121
	v_fmac_f32_e32 v123, v29, v107
	v_and_b32_e32 v107, 0xffff0000, v121
	s_delay_alu instid0(VALU_DEP_2) | instskip(NEXT) | instid1(VALU_DEP_1)
	v_dual_fmac_f32 v123, v30, v108 :: v_dual_and_b32 v108, 0xffff0000, v122
	v_fmac_f32_e32 v123, v31, v107
	v_lshlrev_b32_e32 v107, 16, v122
	s_delay_alu instid0(VALU_DEP_1) | instskip(NEXT) | instid1(VALU_DEP_1)
	v_fmac_f32_e32 v123, v32, v107
	v_fmac_f32_e32 v123, v58, v108
	ds_bpermute_b32 v107, v60, v123
	s_waitcnt lgkmcnt(0)
	v_add_f32_e32 v107, v123, v107
	ds_bpermute_b32 v108, v61, v107
	s_waitcnt lgkmcnt(0)
	v_add_f32_e32 v107, v107, v108
	;; [unrolled: 3-line block ×3, first 2 shown]
                                        ; implicit-def: $vgpr108
	s_delay_alu instid0(VALU_DEP_1) | instskip(NEXT) | instid1(VALU_DEP_1)
	v_cmp_ngt_f32_e64 s10, 0x3f200000, |v107|
	s_and_saveexec_b32 s11, s10
	s_delay_alu instid0(SALU_CYCLE_1)
	s_xor_b32 s10, exec_lo, s11
	s_cbranch_execz .LBB27_38
; %bb.37:                               ;   in Loop: Header=BB27_6 Depth=1
	v_add_f32_e64 v108, |v107|, |v107|
	s_delay_alu instid0(VALU_DEP_1) | instskip(SKIP_1) | instid1(VALU_DEP_2)
	v_mul_f32_e32 v109, 0x3fb8aa3b, v108
	v_cmp_ngt_f32_e32 vcc_lo, 0xc2ce8ed0, v108
	v_rndne_f32_e32 v110, v109
	v_fma_f32 v111, 0x3fb8aa3b, v108, -v109
	s_delay_alu instid0(VALU_DEP_2) | instskip(NEXT) | instid1(VALU_DEP_2)
	v_sub_f32_e32 v109, v109, v110
	v_fmac_f32_e32 v111, 0x32a5705f, v108
	v_cvt_i32_f32_e32 v110, v110
	s_delay_alu instid0(VALU_DEP_2) | instskip(NEXT) | instid1(VALU_DEP_1)
	v_add_f32_e32 v109, v109, v111
	v_exp_f32_e32 v109, v109
	s_waitcnt_depctr 0xfff
	v_ldexp_f32 v109, v109, v110
	s_delay_alu instid0(VALU_DEP_1) | instskip(SKIP_1) | instid1(VALU_DEP_2)
	v_cndmask_b32_e32 v109, 0, v109, vcc_lo
	v_cmp_nlt_f32_e32 vcc_lo, 0x42b17218, v108
	v_cndmask_b32_e32 v108, 0x7f800000, v109, vcc_lo
	s_delay_alu instid0(VALU_DEP_1) | instskip(NEXT) | instid1(VALU_DEP_1)
	v_add_f32_e32 v108, 1.0, v108
	v_rcp_f32_e32 v108, v108
	s_waitcnt_depctr 0xfff
	v_fma_f32 v108, v108, -2.0, 1.0
.LBB27_38:                              ;   in Loop: Header=BB27_6 Depth=1
	s_and_not1_saveexec_b32 s10, s10
; %bb.39:                               ;   in Loop: Header=BB27_6 Depth=1
	v_mul_f32_e32 v108, v107, v107
	s_delay_alu instid0(VALU_DEP_1) | instskip(NEXT) | instid1(VALU_DEP_1)
	v_fmaak_f32 v109, s37, v108, 0x3ca908c9
	v_fmaak_f32 v109, v108, v109, 0xbd5c1c4e
	s_delay_alu instid0(VALU_DEP_1) | instskip(NEXT) | instid1(VALU_DEP_1)
	v_fmaak_f32 v109, v108, v109, 0x3e088382
	v_fmaak_f32 v109, v108, v109, 0xbeaaaa99
	s_delay_alu instid0(VALU_DEP_1) | instskip(NEXT) | instid1(VALU_DEP_1)
	v_mul_f32_e64 v109, |v107|, v109
	v_fma_f32 v108, v108, v109, |v107|
; %bb.40:                               ;   in Loop: Header=BB27_6 Depth=1
	s_or_b32 exec_lo, exec_lo, s10
	s_delay_alu instid0(VALU_DEP_1) | instskip(SKIP_1) | instid1(VALU_DEP_1)
	v_bfi_b32 v107, 0x7fffffff, v108, v107
	s_and_not1_b32 vcc_lo, exec_lo, s22
	v_mul_f32_e32 v107, s41, v107
	s_cbranch_vccnz .LBB27_42
; %bb.41:                               ;   in Loop: Header=BB27_6 Depth=1
	global_load_u16 v108, v104, s[18:19] offset:10
	s_waitcnt vmcnt(0)
	v_fma_mix_f32 v107, v39, v108, v107 op_sel_hi:[0,1,0]
.LBB27_42:                              ;   in Loop: Header=BB27_6 Depth=1
	v_add_co_u32 v120, vcc_lo, v102, v71
	v_add_co_ci_u32_e32 v121, vcc_lo, v103, v75, vcc_lo
	s_clause 0x3
	global_load_b128 v[108:111], v[120:121], off
	global_load_b128 v[112:115], v[120:121], off offset:128
	global_load_b128 v[116:119], v[120:121], off offset:256
	;; [unrolled: 1-line block ×3, first 2 shown]
	s_waitcnt vmcnt(3)
	v_lshlrev_b32_e32 v124, 16, v108
	v_and_b32_e32 v108, 0xffff0000, v108
	s_delay_alu instid0(VALU_DEP_2) | instskip(NEXT) | instid1(VALU_DEP_1)
	v_fma_f32 v124, v124, v2, 0
	v_dual_fmac_f32 v124, v108, v3 :: v_dual_lshlrev_b32 v125, 16, v109
	v_and_b32_e32 v108, 0xffff0000, v109
	s_delay_alu instid0(VALU_DEP_2) | instskip(NEXT) | instid1(VALU_DEP_1)
	v_dual_fmac_f32 v124, v125, v4 :: v_dual_lshlrev_b32 v109, 16, v110
	v_fmac_f32_e32 v124, v108, v5
	v_and_b32_e32 v108, 0xffff0000, v110
	s_delay_alu instid0(VALU_DEP_2) | instskip(NEXT) | instid1(VALU_DEP_1)
	v_dual_fmac_f32 v124, v109, v6 :: v_dual_lshlrev_b32 v109, 16, v111
	v_fmac_f32_e32 v124, v108, v7
	v_and_b32_e32 v108, 0xffff0000, v111
	s_delay_alu instid0(VALU_DEP_2) | instskip(SKIP_1) | instid1(VALU_DEP_1)
	v_fmac_f32_e32 v124, v109, v8
	s_waitcnt vmcnt(2)
	v_dual_fmac_f32 v124, v108, v9 :: v_dual_lshlrev_b32 v109, 16, v112
	v_and_b32_e32 v108, 0xffff0000, v112
	s_delay_alu instid0(VALU_DEP_2) | instskip(NEXT) | instid1(VALU_DEP_1)
	v_dual_fmac_f32 v124, v109, v10 :: v_dual_lshlrev_b32 v109, 16, v113
	v_fmac_f32_e32 v124, v108, v11
	v_and_b32_e32 v108, 0xffff0000, v113
	s_delay_alu instid0(VALU_DEP_2) | instskip(NEXT) | instid1(VALU_DEP_1)
	v_dual_fmac_f32 v124, v109, v12 :: v_dual_lshlrev_b32 v109, 16, v114
	v_fmac_f32_e32 v124, v108, v13
	;; [unrolled: 4-line block ×3, first 2 shown]
	v_and_b32_e32 v108, 0xffff0000, v115
	s_delay_alu instid0(VALU_DEP_2) | instskip(SKIP_1) | instid1(VALU_DEP_1)
	v_fmac_f32_e32 v124, v109, v16
	s_waitcnt vmcnt(1)
	v_dual_fmac_f32 v124, v108, v17 :: v_dual_lshlrev_b32 v109, 16, v116
	v_and_b32_e32 v108, 0xffff0000, v116
	s_delay_alu instid0(VALU_DEP_2) | instskip(NEXT) | instid1(VALU_DEP_1)
	v_dual_fmac_f32 v124, v109, v18 :: v_dual_lshlrev_b32 v109, 16, v117
	v_fmac_f32_e32 v124, v108, v19
	v_and_b32_e32 v108, 0xffff0000, v117
	s_delay_alu instid0(VALU_DEP_2) | instskip(NEXT) | instid1(VALU_DEP_1)
	v_dual_fmac_f32 v124, v109, v20 :: v_dual_lshlrev_b32 v109, 16, v118
	v_fmac_f32_e32 v124, v108, v21
	;; [unrolled: 4-line block ×3, first 2 shown]
	v_and_b32_e32 v108, 0xffff0000, v119
	s_delay_alu instid0(VALU_DEP_2) | instskip(SKIP_1) | instid1(VALU_DEP_1)
	v_fmac_f32_e32 v124, v109, v24
	s_waitcnt vmcnt(0)
	v_dual_fmac_f32 v124, v108, v25 :: v_dual_lshlrev_b32 v109, 16, v120
	v_and_b32_e32 v108, 0xffff0000, v120
	s_delay_alu instid0(VALU_DEP_2) | instskip(NEXT) | instid1(VALU_DEP_1)
	v_fmac_f32_e32 v124, v26, v109
	v_dual_fmac_f32 v124, v27, v108 :: v_dual_lshlrev_b32 v109, 16, v121
	v_and_b32_e32 v108, 0xffff0000, v121
	s_delay_alu instid0(VALU_DEP_2) | instskip(NEXT) | instid1(VALU_DEP_1)
	v_dual_fmac_f32 v124, v28, v109 :: v_dual_lshlrev_b32 v109, 16, v122
	v_fmac_f32_e32 v124, v29, v108
	v_and_b32_e32 v108, 0xffff0000, v122
	s_delay_alu instid0(VALU_DEP_2) | instskip(NEXT) | instid1(VALU_DEP_1)
	v_dual_fmac_f32 v124, v30, v109 :: v_dual_and_b32 v109, 0xffff0000, v123
	v_fmac_f32_e32 v124, v31, v108
	v_lshlrev_b32_e32 v108, 16, v123
	s_delay_alu instid0(VALU_DEP_1) | instskip(NEXT) | instid1(VALU_DEP_1)
	v_fmac_f32_e32 v124, v32, v108
	v_fmac_f32_e32 v124, v58, v109
	ds_bpermute_b32 v108, v60, v124
	s_waitcnt lgkmcnt(0)
	v_add_f32_e32 v108, v124, v108
	ds_bpermute_b32 v109, v61, v108
	s_waitcnt lgkmcnt(0)
	v_add_f32_e32 v108, v108, v109
	ds_bpermute_b32 v109, v62, v108
	s_waitcnt lgkmcnt(0)
	v_add_f32_e32 v108, v108, v109
                                        ; implicit-def: $vgpr109
	s_delay_alu instid0(VALU_DEP_1) | instskip(NEXT) | instid1(VALU_DEP_1)
	v_cmp_ngt_f32_e64 s10, 0x3f200000, |v108|
	s_and_saveexec_b32 s11, s10
	s_delay_alu instid0(SALU_CYCLE_1)
	s_xor_b32 s10, exec_lo, s11
	s_cbranch_execz .LBB27_44
; %bb.43:                               ;   in Loop: Header=BB27_6 Depth=1
	v_add_f32_e64 v109, |v108|, |v108|
	s_delay_alu instid0(VALU_DEP_1) | instskip(SKIP_1) | instid1(VALU_DEP_2)
	v_mul_f32_e32 v110, 0x3fb8aa3b, v109
	v_cmp_ngt_f32_e32 vcc_lo, 0xc2ce8ed0, v109
	v_rndne_f32_e32 v111, v110
	v_fma_f32 v112, 0x3fb8aa3b, v109, -v110
	s_delay_alu instid0(VALU_DEP_2) | instskip(NEXT) | instid1(VALU_DEP_2)
	v_sub_f32_e32 v110, v110, v111
	v_fmac_f32_e32 v112, 0x32a5705f, v109
	v_cvt_i32_f32_e32 v111, v111
	s_delay_alu instid0(VALU_DEP_2) | instskip(NEXT) | instid1(VALU_DEP_1)
	v_add_f32_e32 v110, v110, v112
	v_exp_f32_e32 v110, v110
	s_waitcnt_depctr 0xfff
	v_ldexp_f32 v110, v110, v111
	s_delay_alu instid0(VALU_DEP_1) | instskip(SKIP_1) | instid1(VALU_DEP_2)
	v_cndmask_b32_e32 v110, 0, v110, vcc_lo
	v_cmp_nlt_f32_e32 vcc_lo, 0x42b17218, v109
	v_cndmask_b32_e32 v109, 0x7f800000, v110, vcc_lo
	s_delay_alu instid0(VALU_DEP_1) | instskip(NEXT) | instid1(VALU_DEP_1)
	v_add_f32_e32 v109, 1.0, v109
	v_rcp_f32_e32 v109, v109
	s_waitcnt_depctr 0xfff
	v_fma_f32 v109, v109, -2.0, 1.0
.LBB27_44:                              ;   in Loop: Header=BB27_6 Depth=1
	s_and_not1_saveexec_b32 s10, s10
; %bb.45:                               ;   in Loop: Header=BB27_6 Depth=1
	v_mul_f32_e32 v109, v108, v108
	s_delay_alu instid0(VALU_DEP_1) | instskip(NEXT) | instid1(VALU_DEP_1)
	v_fmaak_f32 v110, s37, v109, 0x3ca908c9
	v_fmaak_f32 v110, v109, v110, 0xbd5c1c4e
	s_delay_alu instid0(VALU_DEP_1) | instskip(NEXT) | instid1(VALU_DEP_1)
	v_fmaak_f32 v110, v109, v110, 0x3e088382
	v_fmaak_f32 v110, v109, v110, 0xbeaaaa99
	s_delay_alu instid0(VALU_DEP_1) | instskip(NEXT) | instid1(VALU_DEP_1)
	v_mul_f32_e64 v110, |v108|, v110
	v_fma_f32 v109, v109, v110, |v108|
; %bb.46:                               ;   in Loop: Header=BB27_6 Depth=1
	s_or_b32 exec_lo, exec_lo, s10
	s_delay_alu instid0(VALU_DEP_1) | instskip(SKIP_1) | instid1(VALU_DEP_1)
	v_bfi_b32 v108, 0x7fffffff, v109, v108
	s_and_not1_b32 vcc_lo, exec_lo, s22
	v_mul_f32_e32 v108, s41, v108
	s_cbranch_vccnz .LBB27_48
; %bb.47:                               ;   in Loop: Header=BB27_6 Depth=1
	global_load_u16 v109, v104, s[18:19] offset:12
	s_waitcnt vmcnt(0)
	v_fma_mix_f32 v108, v39, v109, v108 op_sel_hi:[0,1,0]
.LBB27_48:                              ;   in Loop: Header=BB27_6 Depth=1
	v_add_co_u32 v102, vcc_lo, v102, v74
	v_add_co_ci_u32_e32 v103, vcc_lo, v103, v76, vcc_lo
	s_clause 0x3
	global_load_b128 v[109:112], v[102:103], off
	global_load_b128 v[113:116], v[102:103], off offset:128
	global_load_b128 v[117:120], v[102:103], off offset:256
	;; [unrolled: 1-line block ×3, first 2 shown]
	s_waitcnt vmcnt(3)
	v_lshlrev_b32_e32 v102, 16, v109
	v_and_b32_e32 v103, 0xffff0000, v109
	s_delay_alu instid0(VALU_DEP_2) | instskip(NEXT) | instid1(VALU_DEP_1)
	v_fma_f32 v102, v102, v2, 0
	v_dual_fmac_f32 v102, v103, v3 :: v_dual_lshlrev_b32 v109, 16, v110
	s_delay_alu instid0(VALU_DEP_1) | instskip(NEXT) | instid1(VALU_DEP_1)
	v_dual_fmac_f32 v102, v109, v4 :: v_dual_and_b32 v103, 0xffff0000, v110
	v_dual_fmac_f32 v102, v103, v5 :: v_dual_lshlrev_b32 v109, 16, v111
	s_delay_alu instid0(VALU_DEP_1) | instskip(NEXT) | instid1(VALU_DEP_1)
	v_dual_fmac_f32 v102, v109, v6 :: v_dual_and_b32 v103, 0xffff0000, v111
	v_dual_fmac_f32 v102, v103, v7 :: v_dual_lshlrev_b32 v109, 16, v112
	s_waitcnt vmcnt(2)
	s_delay_alu instid0(VALU_DEP_1) | instskip(SKIP_1) | instid1(VALU_DEP_1)
	v_dual_fmac_f32 v102, v109, v8 :: v_dual_lshlrev_b32 v109, 16, v113
	v_and_b32_e32 v103, 0xffff0000, v112
	v_fmac_f32_e32 v102, v103, v9
	s_delay_alu instid0(VALU_DEP_1) | instskip(SKIP_2) | instid1(VALU_DEP_1)
	v_fmac_f32_e32 v102, v109, v10
	v_lshlrev_b32_e32 v109, 16, v114
	v_and_b32_e32 v103, 0xffff0000, v113
	v_dual_fmac_f32 v102, v103, v11 :: v_dual_and_b32 v103, 0xffff0000, v114
	s_delay_alu instid0(VALU_DEP_1) | instskip(NEXT) | instid1(VALU_DEP_1)
	v_dual_fmac_f32 v102, v109, v12 :: v_dual_lshlrev_b32 v109, 16, v115
	v_dual_fmac_f32 v102, v103, v13 :: v_dual_and_b32 v103, 0xffff0000, v115
	s_delay_alu instid0(VALU_DEP_1) | instskip(NEXT) | instid1(VALU_DEP_1)
	v_dual_fmac_f32 v102, v109, v14 :: v_dual_lshlrev_b32 v109, 16, v116
	v_fmac_f32_e32 v102, v103, v15
	s_waitcnt vmcnt(1)
	s_delay_alu instid0(VALU_DEP_1) | instskip(SKIP_1) | instid1(VALU_DEP_1)
	v_dual_fmac_f32 v102, v109, v16 :: v_dual_lshlrev_b32 v109, 16, v117
	v_and_b32_e32 v103, 0xffff0000, v116
	v_fmac_f32_e32 v102, v103, v17
	s_delay_alu instid0(VALU_DEP_1) | instskip(SKIP_2) | instid1(VALU_DEP_1)
	v_fmac_f32_e32 v102, v109, v18
	v_lshlrev_b32_e32 v109, 16, v118
	v_and_b32_e32 v103, 0xffff0000, v117
	v_dual_fmac_f32 v102, v103, v19 :: v_dual_and_b32 v103, 0xffff0000, v118
	s_delay_alu instid0(VALU_DEP_1) | instskip(NEXT) | instid1(VALU_DEP_1)
	v_dual_fmac_f32 v102, v109, v20 :: v_dual_lshlrev_b32 v109, 16, v119
	v_dual_fmac_f32 v102, v103, v21 :: v_dual_and_b32 v103, 0xffff0000, v119
	s_delay_alu instid0(VALU_DEP_1) | instskip(NEXT) | instid1(VALU_DEP_1)
	v_dual_fmac_f32 v102, v109, v22 :: v_dual_lshlrev_b32 v109, 16, v120
	v_fmac_f32_e32 v102, v103, v23
	s_waitcnt vmcnt(0)
	s_delay_alu instid0(VALU_DEP_1) | instskip(SKIP_1) | instid1(VALU_DEP_1)
	v_dual_fmac_f32 v102, v109, v24 :: v_dual_lshlrev_b32 v109, 16, v121
	v_and_b32_e32 v103, 0xffff0000, v120
	v_fmac_f32_e32 v102, v103, v25
	s_delay_alu instid0(VALU_DEP_1) | instskip(SKIP_2) | instid1(VALU_DEP_1)
	v_fmac_f32_e32 v102, v109, v26
	v_lshlrev_b32_e32 v109, 16, v122
	v_and_b32_e32 v103, 0xffff0000, v121
	v_dual_fmac_f32 v102, v103, v27 :: v_dual_and_b32 v103, 0xffff0000, v122
	s_delay_alu instid0(VALU_DEP_1) | instskip(NEXT) | instid1(VALU_DEP_1)
	v_dual_fmac_f32 v102, v109, v28 :: v_dual_lshlrev_b32 v109, 16, v123
	v_dual_fmac_f32 v102, v103, v29 :: v_dual_and_b32 v103, 0xffff0000, v123
	s_delay_alu instid0(VALU_DEP_1) | instskip(NEXT) | instid1(VALU_DEP_1)
	v_dual_fmac_f32 v102, v109, v30 :: v_dual_and_b32 v109, 0xffff0000, v124
	v_dual_fmac_f32 v102, v103, v31 :: v_dual_lshlrev_b32 v103, 16, v124
	s_delay_alu instid0(VALU_DEP_1) | instskip(NEXT) | instid1(VALU_DEP_1)
	v_fmac_f32_e32 v102, v103, v32
	v_fmac_f32_e32 v102, v109, v58
	ds_bpermute_b32 v103, v60, v102
	s_waitcnt lgkmcnt(0)
	v_add_f32_e32 v102, v102, v103
	ds_bpermute_b32 v103, v61, v102
	s_waitcnt lgkmcnt(0)
	v_add_f32_e32 v102, v102, v103
	;; [unrolled: 3-line block ×3, first 2 shown]
                                        ; implicit-def: $vgpr103
	s_delay_alu instid0(VALU_DEP_1) | instskip(NEXT) | instid1(VALU_DEP_1)
	v_cmp_ngt_f32_e64 s10, 0x3f200000, |v102|
	s_and_saveexec_b32 s11, s10
	s_delay_alu instid0(SALU_CYCLE_1)
	s_xor_b32 s10, exec_lo, s11
	s_cbranch_execz .LBB27_50
; %bb.49:                               ;   in Loop: Header=BB27_6 Depth=1
	v_add_f32_e64 v103, |v102|, |v102|
	s_delay_alu instid0(VALU_DEP_1) | instskip(SKIP_1) | instid1(VALU_DEP_2)
	v_mul_f32_e32 v109, 0x3fb8aa3b, v103
	v_cmp_ngt_f32_e32 vcc_lo, 0xc2ce8ed0, v103
	v_rndne_f32_e32 v110, v109
	v_fma_f32 v111, 0x3fb8aa3b, v103, -v109
	s_delay_alu instid0(VALU_DEP_2) | instskip(NEXT) | instid1(VALU_DEP_2)
	v_sub_f32_e32 v109, v109, v110
	v_fmac_f32_e32 v111, 0x32a5705f, v103
	v_cvt_i32_f32_e32 v110, v110
	s_delay_alu instid0(VALU_DEP_2) | instskip(NEXT) | instid1(VALU_DEP_1)
	v_add_f32_e32 v109, v109, v111
	v_exp_f32_e32 v109, v109
	s_waitcnt_depctr 0xfff
	v_ldexp_f32 v109, v109, v110
	s_delay_alu instid0(VALU_DEP_1) | instskip(SKIP_1) | instid1(VALU_DEP_2)
	v_cndmask_b32_e32 v109, 0, v109, vcc_lo
	v_cmp_nlt_f32_e32 vcc_lo, 0x42b17218, v103
	v_cndmask_b32_e32 v103, 0x7f800000, v109, vcc_lo
	s_delay_alu instid0(VALU_DEP_1) | instskip(NEXT) | instid1(VALU_DEP_1)
	v_add_f32_e32 v103, 1.0, v103
	v_rcp_f32_e32 v103, v103
	s_waitcnt_depctr 0xfff
	v_fma_f32 v103, v103, -2.0, 1.0
.LBB27_50:                              ;   in Loop: Header=BB27_6 Depth=1
	s_and_not1_saveexec_b32 s10, s10
; %bb.51:                               ;   in Loop: Header=BB27_6 Depth=1
	v_mul_f32_e32 v103, v102, v102
	s_delay_alu instid0(VALU_DEP_1) | instskip(NEXT) | instid1(VALU_DEP_1)
	v_fmaak_f32 v109, s37, v103, 0x3ca908c9
	v_fmaak_f32 v109, v103, v109, 0xbd5c1c4e
	s_delay_alu instid0(VALU_DEP_1) | instskip(NEXT) | instid1(VALU_DEP_1)
	v_fmaak_f32 v109, v103, v109, 0x3e088382
	v_fmaak_f32 v109, v103, v109, 0xbeaaaa99
	s_delay_alu instid0(VALU_DEP_1) | instskip(NEXT) | instid1(VALU_DEP_1)
	v_mul_f32_e64 v109, |v102|, v109
	v_fma_f32 v103, v103, v109, |v102|
; %bb.52:                               ;   in Loop: Header=BB27_6 Depth=1
	s_or_b32 exec_lo, exec_lo, s10
	s_delay_alu instid0(VALU_DEP_1) | instskip(SKIP_1) | instid1(VALU_DEP_1)
	v_bfi_b32 v102, 0x7fffffff, v103, v102
	s_and_not1_b32 vcc_lo, exec_lo, s22
	v_mul_f32_e32 v102, s41, v102
	s_cbranch_vccnz .LBB27_54
; %bb.53:                               ;   in Loop: Header=BB27_6 Depth=1
	global_load_u16 v103, v104, s[18:19] offset:14
	s_waitcnt vmcnt(0)
	v_fma_mix_f32 v102, v39, v103, v102 op_sel_hi:[0,1,0]
.LBB27_54:                              ;   in Loop: Header=BB27_6 Depth=1
	v_add_co_u32 v103, vcc_lo, s15, v80
	v_add_co_ci_u32_e32 v104, vcc_lo, s17, v88, vcc_lo
	v_add_f32_e32 v237, 0x40051340, v101
	s_delay_alu instid0(VALU_DEP_3) | instskip(NEXT) | instid1(VALU_DEP_3)
	v_add_co_u32 v103, vcc_lo, v103, v96
	v_add_co_ci_u32_e32 v104, vcc_lo, 0, v104, vcc_lo
	v_dual_add_f32 v238, 0x40051340, v105 :: v_dual_add_f32 v239, 0x40051340, v107
	v_cndmask_b32_e64 v97, v97, v99, s3
	s_clause 0x3
	global_load_b128 v[109:112], v[103:104], off
	global_load_b128 v[113:116], v[103:104], off offset:128
	global_load_b128 v[117:120], v[103:104], off offset:256
	;; [unrolled: 1-line block ×3, first 2 shown]
	v_add_co_u32 v103, vcc_lo, s15, v81
	v_add_co_ci_u32_e32 v104, vcc_lo, s17, v89, vcc_lo
	v_cndmask_b32_e64 v97, v97, v100, s4
	s_delay_alu instid0(VALU_DEP_3) | instskip(NEXT) | instid1(VALU_DEP_3)
	v_add_co_u32 v103, vcc_lo, v103, v96
	v_add_co_ci_u32_e32 v104, vcc_lo, 0, v104, vcc_lo
	v_add_co_u32 v137, vcc_lo, s15, v82
	v_add_co_ci_u32_e32 v138, vcc_lo, s17, v90, vcc_lo
	s_clause 0x1
	global_load_b128 v[125:128], v[103:104], off
	global_load_b128 v[129:132], v[103:104], off offset:128
	v_add_co_u32 v153, vcc_lo, v137, v96
	v_add_co_ci_u32_e32 v154, vcc_lo, 0, v138, vcc_lo
	s_clause 0x3
	global_load_b128 v[133:136], v[103:104], off offset:256
	global_load_b128 v[137:140], v[103:104], off offset:384
	global_load_b128 v[141:144], v[153:154], off
	global_load_b128 v[145:148], v[153:154], off offset:128
	v_add_co_u32 v103, vcc_lo, s15, v83
	v_add_co_ci_u32_e32 v104, vcc_lo, s17, v91, vcc_lo
	global_load_b128 v[149:152], v[153:154], off offset:256
	v_add_co_u32 v103, vcc_lo, v103, v96
	v_add_co_ci_u32_e32 v104, vcc_lo, 0, v104, vcc_lo
	v_add_co_u32 v169, vcc_lo, s15, v84
	v_add_co_ci_u32_e32 v170, vcc_lo, s17, v92, vcc_lo
	s_clause 0x2
	global_load_b128 v[153:156], v[153:154], off offset:384
	global_load_b128 v[157:160], v[103:104], off
	global_load_b128 v[161:164], v[103:104], off offset:128
	v_add_co_u32 v185, vcc_lo, v169, v96
	v_add_co_ci_u32_e32 v186, vcc_lo, 0, v170, vcc_lo
	s_clause 0x3
	global_load_b128 v[165:168], v[103:104], off offset:256
	global_load_b128 v[169:172], v[103:104], off offset:384
	global_load_b128 v[173:176], v[185:186], off
	global_load_b128 v[177:180], v[185:186], off offset:128
	v_add_co_u32 v103, vcc_lo, s15, v85
	v_add_co_ci_u32_e32 v104, vcc_lo, s17, v93, vcc_lo
	global_load_b128 v[181:184], v[185:186], off offset:256
	v_add_co_u32 v103, vcc_lo, v103, v96
	v_add_co_ci_u32_e32 v104, vcc_lo, 0, v104, vcc_lo
	v_add_co_u32 v201, vcc_lo, s15, v86
	v_add_co_ci_u32_e32 v202, vcc_lo, s17, v94, vcc_lo
	s_clause 0x2
	global_load_b128 v[185:188], v[185:186], off offset:384
	global_load_b128 v[189:192], v[103:104], off
	global_load_b128 v[193:196], v[103:104], off offset:128
	v_add_co_u32 v217, vcc_lo, v201, v96
	v_add_co_ci_u32_e32 v218, vcc_lo, 0, v202, vcc_lo
	s_clause 0x3
	global_load_b128 v[197:200], v[103:104], off offset:256
	global_load_b128 v[201:204], v[103:104], off offset:384
	global_load_b128 v[205:208], v[217:218], off
	global_load_b128 v[209:212], v[217:218], off offset:128
	v_add_co_u32 v103, vcc_lo, s15, v87
	v_add_co_ci_u32_e32 v104, vcc_lo, s17, v95, vcc_lo
	global_load_b128 v[213:216], v[217:218], off offset:256
	v_add_co_u32 v103, vcc_lo, v103, v96
	v_add_co_ci_u32_e32 v104, vcc_lo, 0, v104, vcc_lo
	s_clause 0x4
	global_load_b128 v[217:220], v[217:218], off offset:384
	global_load_b128 v[221:224], v[103:104], off
	global_load_b128 v[225:228], v[103:104], off offset:128
	global_load_b128 v[229:232], v[103:104], off offset:256
	;; [unrolled: 1-line block ×3, first 2 shown]
	v_dual_add_f32 v103, 0x40051340, v99 :: v_dual_add_f32 v104, 0x40051340, v100
	v_cndmask_b32_e64 v97, v97, v101, s5
	s_add_i32 s16, s26, s16
	s_add_u32 s20, s20, s23
	s_addc_u32 s21, s21, 0
	v_max3_f32 v103, v98, v103, v104
	v_add_f32_e32 v104, 0x40051340, v106
	v_cndmask_b32_e64 v97, v97, v105, s6
	s_add_u32 s15, s15, s33
	s_addc_u32 s17, s17, 0
	v_max3_f32 v103, v103, v237, v238
	v_dual_add_f32 v237, 0x40051340, v108 :: v_dual_add_f32 v238, 0x40051340, v102
	v_cndmask_b32_e64 v97, v97, v106, s7
	s_lshl_b64 s[10:11], s[26:27], 1
	s_delay_alu instid0(VALU_DEP_3)
	v_max3_f32 v103, v103, v104, v239
	s_add_u32 s18, s18, s10
	s_addc_u32 s19, s19, s11
	v_cndmask_b32_e64 v97, v97, v107, s8
	s_cmp_ge_i32 s16, s38
	v_max3_f32 v103, v103, v237, v238
	s_delay_alu instid0(VALU_DEP_2) | instskip(SKIP_4) | instid1(VALU_DEP_1)
	v_cndmask_b32_e64 v97, v97, v108, s9
	ds_bpermute_b32 v104, v77, v103
	v_cndmask_b32_e64 v97, v97, v102, s2
	s_waitcnt lgkmcnt(0)
	v_max_f32_e32 v99, v104, v104
	v_max_f32_e32 v99, v103, v99
	ds_bpermute_b32 v100, v78, v99
	s_waitcnt lgkmcnt(0)
	v_max_f32_e32 v100, v100, v100
	s_delay_alu instid0(VALU_DEP_1) | instskip(NEXT) | instid1(VALU_DEP_1)
	v_max_f32_e32 v99, v99, v100
	v_sub_f32_e32 v97, v97, v99
	s_delay_alu instid0(VALU_DEP_1) | instskip(NEXT) | instid1(VALU_DEP_1)
	v_mul_f32_e32 v100, 0x3fb8aa3b, v97
	v_fma_f32 v101, 0x3fb8aa3b, v97, -v100
	v_rndne_f32_e32 v102, v100
	s_delay_alu instid0(VALU_DEP_1) | instskip(SKIP_2) | instid1(VALU_DEP_3)
	v_dual_sub_f32 v100, v100, v102 :: v_dual_fmac_f32 v101, 0x32a5705f, v97
	v_sub_f32_e32 v98, v98, v99
	v_cvt_i32_f32_e32 v102, v102
	v_add_f32_e32 v100, v100, v101
	v_cmp_ngt_f32_e32 vcc_lo, 0xc2ce8ed0, v97
	s_delay_alu instid0(VALU_DEP_2) | instskip(SKIP_2) | instid1(VALU_DEP_1)
	v_exp_f32_e32 v100, v100
	s_waitcnt_depctr 0xfff
	v_ldexp_f32 v100, v100, v102
	v_dual_mul_f32 v101, 0x3fb8aa3b, v98 :: v_dual_cndmask_b32 v100, 0, v100
	s_delay_alu instid0(VALU_DEP_1) | instskip(SKIP_2) | instid1(VALU_DEP_2)
	v_fma_f32 v103, 0x3fb8aa3b, v98, -v101
	v_rndne_f32_e32 v104, v101
	v_cmp_nlt_f32_e32 vcc_lo, 0x42b17218, v97
	v_sub_f32_e32 v101, v101, v104
	v_cndmask_b32_e32 v97, 0x7f800000, v100, vcc_lo
	v_cmp_ngt_f32_e32 vcc_lo, 0xc2ce8ed0, v98
	v_fmac_f32_e32 v103, 0x32a5705f, v98
	v_cvt_i32_f32_e32 v100, v104
	s_delay_alu instid0(VALU_DEP_4) | instskip(NEXT) | instid1(VALU_DEP_3)
	v_cvt_f16_f32_e32 v102, v97
	v_add_f32_e32 v101, v101, v103
	ds_store_b16 v34, v102
	v_exp_f32_e32 v101, v101
	s_waitcnt_depctr 0xfff
	v_ldexp_f32 v100, v101, v100
	ds_load_u16 v101, v79
	v_cndmask_b32_e32 v100, 0, v100, vcc_lo
	v_cmp_nlt_f32_e32 vcc_lo, 0x42b17218, v98
	s_delay_alu instid0(VALU_DEP_2) | instskip(NEXT) | instid1(VALU_DEP_1)
	v_cndmask_b32_e32 v98, 0x7f800000, v100, vcc_lo
	v_cvt_f16_f32_e32 v100, v98
	v_fma_f32 v41, v41, v98, v97
	ds_load_u16 v98, v79 offset:8
	ds_load_u16 v102, v79 offset:16
	;; [unrolled: 1-line block ×7, first 2 shown]
	s_waitcnt vmcnt(31) lgkmcnt(7)
	v_pk_mul_f16 v108, v101, v109 op_sel_hi:[0,1]
	v_pk_mul_f16 v109, v101, v110 op_sel_hi:[0,1]
	v_pk_mul_f16 v110, v101, v111 op_sel_hi:[0,1]
	v_pk_mul_f16 v111, v101, v112 op_sel_hi:[0,1]
	s_waitcnt vmcnt(30)
	v_pk_mul_f16 v112, v101, v113 op_sel_hi:[0,1]
	v_pk_mul_f16 v113, v101, v114 op_sel_hi:[0,1]
	v_pk_mul_f16 v114, v101, v115 op_sel_hi:[0,1]
	v_pk_mul_f16 v115, v101, v116 op_sel_hi:[0,1]
	s_waitcnt vmcnt(29)
	;; [unrolled: 5-line block ×3, first 2 shown]
	v_pk_mul_f16 v120, v101, v121 op_sel_hi:[0,1]
	v_pk_mul_f16 v121, v101, v122 op_sel_hi:[0,1]
	;; [unrolled: 1-line block ×4, first 2 shown]
	v_pk_fma_f16 v52, v100, v52, v108 op_sel_hi:[0,1,1]
	v_pk_fma_f16 v56, v100, v56, v109 op_sel_hi:[0,1,1]
	;; [unrolled: 1-line block ×16, first 2 shown]
	s_waitcnt vmcnt(27) lgkmcnt(6)
	v_pk_fma_f16 v52, v98, v125, v52 op_sel_hi:[0,1,1]
	v_pk_fma_f16 v56, v98, v126, v56 op_sel_hi:[0,1,1]
	v_pk_fma_f16 v55, v98, v127, v55 op_sel_hi:[0,1,1]
	v_pk_fma_f16 v54, v98, v128, v54 op_sel_hi:[0,1,1]
	s_waitcnt vmcnt(26)
	v_pk_fma_f16 v53, v98, v129, v53 op_sel_hi:[0,1,1]
	v_pk_fma_f16 v51, v98, v130, v51 op_sel_hi:[0,1,1]
	v_pk_fma_f16 v50, v98, v131, v50 op_sel_hi:[0,1,1]
	v_pk_fma_f16 v49, v98, v132, v49 op_sel_hi:[0,1,1]
	s_waitcnt vmcnt(25)
	v_pk_fma_f16 v48, v98, v133, v48 op_sel_hi:[0,1,1]
	v_pk_fma_f16 v47, v98, v134, v47 op_sel_hi:[0,1,1]
	v_pk_fma_f16 v46, v98, v135, v46 op_sel_hi:[0,1,1]
	v_pk_fma_f16 v45, v98, v136, v45 op_sel_hi:[0,1,1]
	s_waitcnt vmcnt(24)
	v_pk_fma_f16 v44, v98, v137, v44 op_sel_hi:[0,1,1]
	v_pk_fma_f16 v43, v98, v138, v43 op_sel_hi:[0,1,1]
	v_pk_fma_f16 v42, v98, v139, v42 op_sel_hi:[0,1,1]
	v_pk_fma_f16 v40, v98, v140, v40 op_sel_hi:[0,1,1]
	s_waitcnt vmcnt(23) lgkmcnt(5)
	v_pk_fma_f16 v52, v102, v141, v52 op_sel_hi:[0,1,1]
	v_pk_fma_f16 v56, v102, v142, v56 op_sel_hi:[0,1,1]
	v_pk_fma_f16 v55, v102, v143, v55 op_sel_hi:[0,1,1]
	v_pk_fma_f16 v54, v102, v144, v54 op_sel_hi:[0,1,1]
	s_waitcnt vmcnt(22)
	v_pk_fma_f16 v53, v102, v145, v53 op_sel_hi:[0,1,1]
	v_pk_fma_f16 v51, v102, v146, v51 op_sel_hi:[0,1,1]
	v_pk_fma_f16 v50, v102, v147, v50 op_sel_hi:[0,1,1]
	v_pk_fma_f16 v49, v102, v148, v49 op_sel_hi:[0,1,1]
	s_waitcnt vmcnt(21)
	v_pk_fma_f16 v48, v102, v149, v48 op_sel_hi:[0,1,1]
	v_pk_fma_f16 v47, v102, v150, v47 op_sel_hi:[0,1,1]
	v_pk_fma_f16 v46, v102, v151, v46 op_sel_hi:[0,1,1]
	v_pk_fma_f16 v45, v102, v152, v45 op_sel_hi:[0,1,1]
	s_waitcnt vmcnt(20)
	v_pk_fma_f16 v44, v102, v153, v44 op_sel_hi:[0,1,1]
	v_pk_fma_f16 v43, v102, v154, v43 op_sel_hi:[0,1,1]
	v_pk_fma_f16 v42, v102, v155, v42 op_sel_hi:[0,1,1]
	v_pk_fma_f16 v40, v102, v156, v40 op_sel_hi:[0,1,1]
	;; [unrolled: 20-line block ×7, first 2 shown]
	s_cbranch_scc1 .LBB27_56
; %bb.55:                               ;   in Loop: Header=BB27_6 Depth=1
	v_mov_b32_e32 v98, v99
	s_branch .LBB27_6
.LBB27_56:
	s_waitcnt vmcnt(1)
	v_or_b32_e32 v1, s14, v38
	s_cmp_lg_u64 s[24:25], 0
	s_cselect_b32 s2, -1, 0
	s_delay_alu instid0(VALU_DEP_1) | instskip(SKIP_1) | instid1(SALU_CYCLE_1)
	v_cmp_eq_u32_e32 vcc_lo, 0, v1
	s_and_b32 s3, vcc_lo, s2
	s_and_saveexec_b32 s2, s3
	s_cbranch_execz .LBB27_58
; %bb.57:
	s_ashr_i32 s37, s36, 31
	v_max_f32_e32 v1, v99, v99
	s_lshl_b64 s[4:5], s[36:37], 2
	s_delay_alu instid0(SALU_CYCLE_1) | instskip(SKIP_4) | instid1(VALU_DEP_1)
	s_add_u32 s4, s24, s4
	s_addc_u32 s5, s25, s5
	s_load_b32 s3, s[4:5], 0x0
	s_waitcnt lgkmcnt(0)
	v_max_f32_e64 v2, s3, s3
	v_max_f32_e32 v1, v2, v1
	s_delay_alu instid0(VALU_DEP_1) | instskip(NEXT) | instid1(VALU_DEP_1)
	v_sub_f32_e32 v2, v99, v1
	v_mul_f32_e32 v4, 0x3fb8aa3b, v2
	s_waitcnt vmcnt(0)
	s_delay_alu instid0(VALU_DEP_1) | instskip(SKIP_1) | instid1(VALU_DEP_2)
	v_fma_f32 v6, 0x3fb8aa3b, v2, -v4
	v_rndne_f32_e32 v7, v4
	v_dual_fmac_f32 v6, 0x32a5705f, v2 :: v_dual_sub_f32 v3, s3, v1
	s_delay_alu instid0(VALU_DEP_2) | instskip(NEXT) | instid1(VALU_DEP_2)
	v_dual_sub_f32 v4, v4, v7 :: v_dual_mov_b32 v99, v1
	v_mul_f32_e32 v5, 0x3fb8aa3b, v3
	v_cmp_ngt_f32_e32 vcc_lo, 0xc2ce8ed0, v2
	s_delay_alu instid0(VALU_DEP_2) | instskip(SKIP_1) | instid1(VALU_DEP_1)
	v_fma_f32 v8, 0x3fb8aa3b, v3, -v5
	v_rndne_f32_e32 v9, v5
	v_dual_fmac_f32 v8, 0x32a5705f, v3 :: v_dual_sub_f32 v5, v5, v9
	v_add_f32_e32 v4, v4, v6
	v_cvt_i32_f32_e32 v6, v7
	v_cvt_i32_f32_e32 v7, v9
	s_delay_alu instid0(VALU_DEP_4) | instskip(NEXT) | instid1(VALU_DEP_4)
	v_add_f32_e32 v5, v5, v8
	v_exp_f32_e32 v4, v4
	s_delay_alu instid0(VALU_DEP_1) | instskip(SKIP_3) | instid1(VALU_DEP_2)
	v_exp_f32_e32 v5, v5
	s_waitcnt_depctr 0xfff
	v_ldexp_f32 v4, v4, v6
	v_ldexp_f32 v5, v5, v7
	v_cndmask_b32_e32 v4, 0, v4, vcc_lo
	v_cmp_ngt_f32_e32 vcc_lo, 0xc2ce8ed0, v3
	s_delay_alu instid0(VALU_DEP_3) | instskip(SKIP_1) | instid1(VALU_DEP_4)
	v_cndmask_b32_e32 v5, 0, v5, vcc_lo
	v_cmp_nlt_f32_e32 vcc_lo, 0x42b17218, v2
	v_cndmask_b32_e32 v2, 0x7f800000, v4, vcc_lo
	v_cmp_nlt_f32_e32 vcc_lo, 0x42b17218, v3
	s_delay_alu instid0(VALU_DEP_4) | instskip(SKIP_1) | instid1(VALU_DEP_2)
	v_cndmask_b32_e32 v3, 0x7f800000, v5, vcc_lo
	v_cmp_eq_u32_e32 vcc_lo, 0, v37
	v_cndmask_b32_e32 v3, 0, v3, vcc_lo
	s_delay_alu instid0(VALU_DEP_1) | instskip(NEXT) | instid1(VALU_DEP_1)
	v_fmac_f32_e32 v3, v41, v2
	v_mov_b32_e32 v41, v3
	v_cvt_f16_f32_e32 v4, v2
	s_delay_alu instid0(VALU_DEP_1)
	v_pk_mul_f16 v52, v4, v52 op_sel_hi:[0,1]
	v_pk_mul_f16 v56, v4, v56 op_sel_hi:[0,1]
	;; [unrolled: 1-line block ×16, first 2 shown]
.LBB27_58:
	s_or_b32 exec_lo, exec_lo, s2
	s_delay_alu instid0(SALU_CYCLE_1)
	s_mov_b32 s2, exec_lo
	v_cmpx_eq_u32_e32 0, v38
	s_cbranch_execz .LBB27_60
; %bb.59:
	v_dual_mov_b32 v1, 0xfeffffff :: v_dual_mov_b32 v2, 0
	v_add_nc_u32_e32 v3, 0x2000, v35
	ds_store_2addr_b32 v3, v1, v2 offset1:32
.LBB27_60:
	s_or_b32 exec_lo, exec_lo, s2
	v_cmp_eq_u32_e32 vcc_lo, 0, v37
	s_waitcnt vmcnt(0)
	v_lshlrev_b32_e32 v6, 2, v38
	s_waitcnt lgkmcnt(0)
	s_barrier
	buffer_gl0_inv
	s_and_saveexec_b32 s2, vcc_lo
	s_cbranch_execz .LBB27_62
; %bb.61:
	ds_store_b32 v6, v99 offset:8192
.LBB27_62:
	s_or_b32 exec_lo, exec_lo, s2
	s_waitcnt lgkmcnt(0)
	s_barrier
	buffer_gl0_inv
	ds_load_b32 v1, v35 offset:8192
	v_xor_b32_e32 v2, 16, v0
	v_xor_b32_e32 v3, 8, v0
	;; [unrolled: 1-line block ×3, first 2 shown]
	v_lshlrev_b32_e32 v14, 6, v37
	s_delay_alu instid0(VALU_DEP_4) | instskip(NEXT) | instid1(VALU_DEP_2)
	v_cmp_gt_i32_e64 s2, 32, v2
	v_and_b32_e32 v18, 0x1e00, v14
	s_delay_alu instid0(VALU_DEP_2) | instskip(SKIP_1) | instid1(VALU_DEP_3)
	v_cndmask_b32_e64 v2, v0, v2, s2
	v_cmp_gt_i32_e64 s2, 32, v3
	v_lshl_add_u32 v22, v38, 11, v18
	s_delay_alu instid0(VALU_DEP_3) | instskip(NEXT) | instid1(VALU_DEP_3)
	v_lshlrev_b32_e32 v4, 2, v2
	v_cndmask_b32_e64 v3, v0, v3, s2
	s_delay_alu instid0(VALU_DEP_3)
	v_lshl_or_b32 v25, v36, 2, v22
	s_waitcnt lgkmcnt(0)
	ds_bpermute_b32 v2, v4, v1
	v_max_f32_e32 v1, v1, v1
	v_lshlrev_b32_e32 v5, 2, v3
	v_xor_b32_e32 v3, 4, v0
	s_delay_alu instid0(VALU_DEP_1) | instskip(NEXT) | instid1(VALU_DEP_1)
	v_cmp_gt_i32_e64 s2, 32, v3
	v_cndmask_b32_e64 v3, v0, v3, s2
	v_cmp_gt_i32_e64 s2, 32, v7
	s_delay_alu instid0(VALU_DEP_2) | instskip(NEXT) | instid1(VALU_DEP_2)
	v_lshlrev_b32_e32 v3, 2, v3
	v_cndmask_b32_e64 v7, v0, v7, s2
	s_waitcnt lgkmcnt(0)
	v_max_f32_e32 v2, v2, v2
	s_delay_alu instid0(VALU_DEP_1) | instskip(SKIP_3) | instid1(VALU_DEP_1)
	v_max_f32_e32 v1, v1, v2
	ds_bpermute_b32 v2, v5, v1
	s_waitcnt lgkmcnt(0)
	v_max_f32_e32 v2, v2, v2
	v_max_f32_e32 v1, v1, v2
	ds_bpermute_b32 v2, v3, v1
	s_waitcnt lgkmcnt(0)
	v_max_f32_e32 v8, v2, v2
	s_delay_alu instid0(VALU_DEP_1) | instskip(SKIP_3) | instid1(VALU_DEP_1)
	v_dual_max_f32 v7, v1, v8 :: v_dual_lshlrev_b32 v2, 2, v7
	v_xor_b32_e32 v8, 1, v0
	ds_bpermute_b32 v1, v2, v7
	v_cmp_gt_i32_e64 s2, 32, v8
	v_cndmask_b32_e64 v0, v0, v8, s2
	s_waitcnt lgkmcnt(0)
	s_delay_alu instid0(VALU_DEP_1) | instskip(NEXT) | instid1(VALU_DEP_1)
	v_dual_max_f32 v8, v1, v1 :: v_dual_lshlrev_b32 v1, 2, v0
	v_max_f32_e32 v0, v7, v8
	ds_bpermute_b32 v7, v1, v0
	s_waitcnt lgkmcnt(0)
	v_max_f32_e32 v7, v7, v7
	s_delay_alu instid0(VALU_DEP_1) | instskip(NEXT) | instid1(VALU_DEP_1)
	v_max_f32_e32 v0, v0, v7
	v_sub_f32_e32 v7, v99, v0
	s_delay_alu instid0(VALU_DEP_1) | instskip(NEXT) | instid1(VALU_DEP_1)
	v_mul_f32_e32 v8, 0x3fb8aa3b, v7
	v_fma_f32 v9, 0x3fb8aa3b, v7, -v8
	v_rndne_f32_e32 v10, v8
	s_delay_alu instid0(VALU_DEP_1) | instskip(NEXT) | instid1(VALU_DEP_1)
	v_dual_fmamk_f32 v9, v7, 0x32a5705f, v9 :: v_dual_sub_f32 v8, v8, v10
	v_add_f32_e32 v8, v8, v9
	v_cvt_i32_f32_e32 v9, v10
	v_cmp_ngt_f32_e64 s2, 0xc2ce8ed0, v7
	s_delay_alu instid0(VALU_DEP_3) | instskip(SKIP_2) | instid1(VALU_DEP_1)
	v_exp_f32_e32 v8, v8
	s_waitcnt_depctr 0xfff
	v_ldexp_f32 v8, v8, v9
	v_cndmask_b32_e64 v8, 0, v8, s2
	v_cmp_nlt_f32_e64 s2, 0x42b17218, v7
	s_delay_alu instid0(VALU_DEP_1) | instskip(NEXT) | instid1(VALU_DEP_1)
	v_cndmask_b32_e64 v7, 0x7f800000, v8, s2
	v_mul_f32_e32 v8, v41, v7
	v_cvt_f16_f32_e32 v24, v7
	ds_bpermute_b32 v8, v4, v8
	v_pk_mul_f16 v10, v24, v56 op_sel_hi:[0,1]
	v_pk_mul_f16 v12, v24, v54 op_sel_hi:[0,1]
	;; [unrolled: 1-line block ×13, first 2 shown]
	s_waitcnt lgkmcnt(0)
	v_fmac_f32_e32 v8, v41, v7
	ds_bpermute_b32 v9, v5, v8
	s_waitcnt lgkmcnt(0)
	v_add_f32_e32 v8, v8, v9
	ds_bpermute_b32 v9, v3, v8
	s_waitcnt lgkmcnt(0)
	v_add_f32_e32 v8, v8, v9
	v_pk_mul_f16 v9, v24, v52 op_sel_hi:[0,1]
	ds_bpermute_b32 v11, v2, v8
	s_waitcnt lgkmcnt(0)
	v_add_f32_e32 v7, v8, v11
	v_pk_mul_f16 v11, v24, v55 op_sel_hi:[0,1]
	v_pk_mul_f16 v24, v24, v40 op_sel_hi:[0,1]
	ds_store_b128 v25, v[9:12]
	ds_store_b128 v25, v[13:16] offset:128
	ds_store_b128 v25, v[17:20] offset:256
	;; [unrolled: 1-line block ×3, first 2 shown]
	ds_bpermute_b32 v8, v1, v7
	s_and_saveexec_b32 s2, vcc_lo
	s_cbranch_execz .LBB27_64
; %bb.63:
	s_waitcnt lgkmcnt(0)
	v_add_f32_e32 v7, v7, v8
	ds_store_b32 v6, v7 offset:8320
.LBB27_64:
	s_or_b32 exec_lo, exec_lo, s2
	s_waitcnt lgkmcnt(0)
	s_barrier
	buffer_gl0_inv
	ds_load_b32 v6, v35 offset:8320
	ds_load_u16 v7, v34
	ds_load_u16 v8, v34 offset:1280
	ds_load_u16 v9, v34 offset:768
	;; [unrolled: 1-line block ×3, first 2 shown]
	s_mul_i32 s2, s12, s34
	s_waitcnt lgkmcnt(4)
	ds_bpermute_b32 v4, v4, v6
	s_waitcnt lgkmcnt(4)
	v_cvt_f32_f16_e32 v7, v7
	s_waitcnt lgkmcnt(3)
	v_cvt_f32_f16_e32 v8, v8
	;; [unrolled: 2-line block ×4, first 2 shown]
	s_delay_alu instid0(VALU_DEP_1)
	v_dual_add_f32 v7, 0, v7 :: v_dual_add_f32 v10, 0, v10
	s_waitcnt lgkmcnt(0)
	v_add_f32_e32 v4, v6, v4
	ds_load_u16 v6, v34 offset:512
	ds_load_u16 v11, v34 offset:1024
	;; [unrolled: 1-line block ×16, first 2 shown]
	ds_bpermute_b32 v5, v5, v4
	s_waitcnt lgkmcnt(14)
	v_cvt_f32_f16_e32 v12, v12
	s_waitcnt lgkmcnt(13)
	v_cvt_f32_f16_e32 v13, v13
	v_cvt_f32_f16_e32 v6, v6
	s_waitcnt lgkmcnt(7)
	v_cvt_f32_f16_e32 v19, v19
	s_waitcnt lgkmcnt(0)
	v_add_f32_e32 v4, v4, v5
	v_cvt_f32_f16_e32 v5, v11
	v_add_f32_e32 v6, v7, v6
	ds_load_u16 v7, v34 offset:4608
	ds_load_u16 v11, v34 offset:4352
	v_add_f32_e32 v5, v6, v5
	ds_load_u16 v6, v34 offset:4096
	ds_load_u16 v26, v34 offset:3840
	v_add_f32_e32 v5, v5, v12
	ds_bpermute_b32 v3, v3, v4
	ds_load_u16 v12, v34 offset:7680
	ds_load_u16 v27, v34 offset:7424
	v_add_f32_e32 v5, v5, v13
	ds_load_u16 v13, v34 offset:7168
	ds_load_u16 v28, v34 offset:6912
	s_load_b32 s3, s[0:1], 0xd4
	s_waitcnt lgkmcnt(0)
	v_cvt_f32_f16_e32 v7, v7
	v_cvt_f32_f16_e32 v6, v6
	v_add_f32_e32 v3, v4, v3
	v_cvt_f32_f16_e32 v4, v21
	v_add_f32_e32 v9, v10, v9
	v_cvt_f32_f16_e32 v10, v17
	s_cmp_eq_u32 s3, 1
	s_delay_alu instid0(VALU_DEP_2)
	v_add_f32_e32 v8, v9, v8
	ds_bpermute_b32 v2, v2, v3
	v_cvt_f32_f16_e32 v9, v15
	v_cvt_f32_f16_e32 v15, v26
	s_cselect_b32 s1, -1, 0
	v_dual_add_f32 v4, v8, v4 :: v_dual_add_f32 v5, v5, v19
	v_cvt_f32_f16_e32 v8, v18
	s_add_i32 s2, s2, s13
	s_delay_alu instid0(SALU_CYCLE_1) | instskip(NEXT) | instid1(VALU_DEP_2)
	s_mul_i32 s2, s2, s35
	v_add_f32_e32 v5, v5, v10
	v_cvt_f32_f16_e32 v10, v20
	s_add_i32 s2, s2, s36
	s_delay_alu instid0(SALU_CYCLE_1) | instskip(NEXT) | instid1(VALU_DEP_1)
	s_mul_i32 s2, s3, s2
	v_add_f32_e32 v4, v4, v10
	v_cvt_f32_f16_e32 v10, v16
	s_add_i32 s2, s2, s14
	s_cmp_lg_u32 s3, 1
	s_mov_b32 s3, 0
	v_dual_add_f32 v4, v4, v8 :: v_dual_add_f32 v5, v5, v9
	ds_load_u16 v9, v34 offset:6656
	s_waitcnt lgkmcnt(1)
	v_add_f32_e32 v2, v3, v2
	v_cvt_f32_f16_e32 v8, v24
	v_add_f32_e32 v4, v4, v10
	v_add_f32_e32 v5, v5, v6
	v_cvt_f32_f16_e32 v3, v11
	ds_bpermute_b32 v1, v1, v2
	ds_load_u16 v6, v34 offset:6400
	v_add_f32_e32 v4, v4, v15
	v_add_f32_e32 v5, v5, v7
	v_cvt_f32_f16_e32 v10, v22
	ds_load_u16 v7, v34 offset:5888
	v_add_f32_e32 v3, v4, v3
	s_waitcnt lgkmcnt(3)
	v_cvt_f32_f16_e32 v4, v9
	v_cvt_f32_f16_e32 v9, v13
	v_add_f32_e32 v5, v5, v8
	v_cvt_f32_f16_e32 v8, v14
	s_waitcnt lgkmcnt(2)
	v_add_f32_e32 v1, v2, v1
	s_delay_alu instid0(VALU_DEP_3)
	v_add_f32_e32 v5, v5, v10
	v_cvt_f32_f16_e32 v2, v28
	v_cvt_f32_f16_e32 v10, v25
	s_waitcnt lgkmcnt(1)
	v_cvt_f32_f16_e32 v6, v6
	s_waitcnt lgkmcnt(0)
	v_cvt_f32_f16_e32 v7, v7
	v_add_f32_e32 v5, v5, v8
	v_cvt_f32_f16_e32 v8, v23
	s_delay_alu instid0(VALU_DEP_2)
	v_add_f32_e32 v4, v5, v4
	ds_load_u16 v5, v34 offset:7936
	v_add_f32_e32 v4, v4, v9
	s_waitcnt lgkmcnt(0)
	v_cvt_f32_f16_e32 v5, v5
	v_add_f32_e32 v3, v3, v10
	s_delay_alu instid0(VALU_DEP_1) | instskip(SKIP_1) | instid1(VALU_DEP_2)
	v_add_f32_e32 v3, v3, v8
	v_cvt_f32_f16_e32 v8, v12
	v_add_f32_e32 v3, v3, v7
	s_delay_alu instid0(VALU_DEP_2) | instskip(NEXT) | instid1(VALU_DEP_2)
	v_add_f32_e32 v7, v4, v8
	v_add_f32_e32 v3, v3, v6
	s_delay_alu instid0(VALU_DEP_2) | instskip(SKIP_2) | instid1(VALU_DEP_4)
	v_div_scale_f32 v4, null, v1, v1, v7
	v_cvt_f32_f16_e32 v6, v27
	v_div_scale_f32 v8, vcc_lo, v7, v1, v7
	v_add_f32_e32 v2, v3, v2
	s_delay_alu instid0(VALU_DEP_4) | instskip(NEXT) | instid1(VALU_DEP_1)
	v_rcp_f32_e32 v3, v4
	v_add_f32_e32 v2, v2, v6
	s_delay_alu instid0(VALU_DEP_1) | instskip(SKIP_3) | instid1(VALU_DEP_2)
	v_add_f32_e32 v6, v2, v5
	s_waitcnt_depctr 0xfff
	v_fma_f32 v2, -v4, v3, 1.0
	v_div_scale_f32 v5, null, v1, v1, v6
	v_fmac_f32_e32 v3, v2, v3
	s_delay_alu instid0(VALU_DEP_2) | instskip(NEXT) | instid1(VALU_DEP_1)
	v_rcp_f32_e32 v9, v5
	v_mul_f32_e32 v2, v8, v3
	s_delay_alu instid0(VALU_DEP_1) | instskip(SKIP_4) | instid1(VALU_DEP_3)
	v_fma_f32 v10, -v4, v2, v8
	s_waitcnt_depctr 0xfff
	v_fma_f32 v11, -v5, v9, 1.0
	v_fmac_f32_e32 v2, v10, v3
	v_div_scale_f32 v10, s0, v6, v1, v6
	v_fmac_f32_e32 v9, v11, v9
	s_delay_alu instid0(VALU_DEP_3) | instskip(NEXT) | instid1(VALU_DEP_2)
	v_fma_f32 v4, -v4, v2, v8
	v_mul_f32_e32 v8, v10, v9
	s_delay_alu instid0(VALU_DEP_2) | instskip(SKIP_1) | instid1(VALU_DEP_2)
	v_div_fmas_f32 v2, v4, v3, v2
	s_mov_b32 vcc_lo, s0
	v_fma_f32 v3, -v5, v8, v10
	s_delay_alu instid0(VALU_DEP_2) | instskip(SKIP_1) | instid1(VALU_DEP_3)
	v_div_fixup_f32 v11, v2, v1, v7
	v_lshl_or_b32 v2, s2, 8, v33
	v_dual_fmac_f32 v8, v3, v9 :: v_dual_mov_b32 v3, 0
	s_delay_alu instid0(VALU_DEP_3) | instskip(NEXT) | instid1(VALU_DEP_2)
	v_cndmask_b32_e64 v7, v7, v11, s1
	v_fma_f32 v4, -v5, v8, v10
	s_delay_alu instid0(VALU_DEP_1) | instskip(NEXT) | instid1(VALU_DEP_4)
	v_div_fmas_f32 v8, v4, v9, v8
	v_lshlrev_b64 v[4:5], 2, v[2:3]
	v_cmp_eq_u32_e32 vcc_lo, 0, v33
	s_delay_alu instid0(VALU_DEP_3) | instskip(NEXT) | instid1(VALU_DEP_3)
	v_div_fixup_f32 v2, v8, v1, v6
	v_add_co_u32 v4, s0, s28, v4
	s_delay_alu instid0(VALU_DEP_1) | instskip(NEXT) | instid1(VALU_DEP_3)
	v_add_co_ci_u32_e64 v5, s0, s29, v5, s0
	v_cndmask_b32_e64 v2, v6, v2, s1
	s_cselect_b32 s0, -1, 0
	s_clause 0x1
	global_store_b32 v[4:5], v7, off
	global_store_b32 v[4:5], v2, off offset:512
	s_and_b32 s0, vcc_lo, s0
	s_delay_alu instid0(SALU_CYCLE_1)
	s_and_saveexec_b32 s1, s0
	s_cbranch_execz .LBB27_66
; %bb.65:
	s_lshl_b64 s[0:1], s[2:3], 3
	s_delay_alu instid0(SALU_CYCLE_1)
	s_add_u32 s0, s30, s0
	s_addc_u32 s1, s31, s1
	global_store_b64 v3, v[0:1], s[0:1]
.LBB27_66:
	s_nop 0
	s_sendmsg sendmsg(MSG_DEALLOC_VGPRS)
	s_endpgm
	.section	.rodata,"a",@progbits
	.p2align	6, 0x0
	.amdhsa_kernel _ZL18flash_attn_ext_vecILi256ELi1EL9ggml_type30ELS0_1ELb1EEvPKcS2_S2_S2_S2_PKiPfP15HIP_vector_typeIfLj2EEffffjfiS6_IjLj3EEiiiiiiiiiiiliiliiiiil
		.amdhsa_group_segment_fixed_size 8448
		.amdhsa_private_segment_fixed_size 0
		.amdhsa_kernarg_size 464
		.amdhsa_user_sgpr_count 13
		.amdhsa_user_sgpr_dispatch_ptr 0
		.amdhsa_user_sgpr_queue_ptr 0
		.amdhsa_user_sgpr_kernarg_segment_ptr 1
		.amdhsa_user_sgpr_dispatch_id 0
		.amdhsa_user_sgpr_private_segment_size 0
		.amdhsa_wavefront_size32 1
		.amdhsa_uses_dynamic_stack 0
		.amdhsa_enable_private_segment 0
		.amdhsa_system_sgpr_workgroup_id_x 1
		.amdhsa_system_sgpr_workgroup_id_y 1
		.amdhsa_system_sgpr_workgroup_id_z 1
		.amdhsa_system_sgpr_workgroup_info 0
		.amdhsa_system_vgpr_workitem_id 1
		.amdhsa_next_free_vgpr 240
		.amdhsa_next_free_sgpr 48
		.amdhsa_reserve_vcc 1
		.amdhsa_float_round_mode_32 0
		.amdhsa_float_round_mode_16_64 0
		.amdhsa_float_denorm_mode_32 3
		.amdhsa_float_denorm_mode_16_64 3
		.amdhsa_dx10_clamp 1
		.amdhsa_ieee_mode 1
		.amdhsa_fp16_overflow 0
		.amdhsa_workgroup_processor_mode 1
		.amdhsa_memory_ordered 1
		.amdhsa_forward_progress 0
		.amdhsa_shared_vgpr_count 0
		.amdhsa_exception_fp_ieee_invalid_op 0
		.amdhsa_exception_fp_denorm_src 0
		.amdhsa_exception_fp_ieee_div_zero 0
		.amdhsa_exception_fp_ieee_overflow 0
		.amdhsa_exception_fp_ieee_underflow 0
		.amdhsa_exception_fp_ieee_inexact 0
		.amdhsa_exception_int_div_zero 0
	.end_amdhsa_kernel
	.section	.text._ZL18flash_attn_ext_vecILi256ELi1EL9ggml_type30ELS0_1ELb1EEvPKcS2_S2_S2_S2_PKiPfP15HIP_vector_typeIfLj2EEffffjfiS6_IjLj3EEiiiiiiiiiiiliiliiiiil,"axG",@progbits,_ZL18flash_attn_ext_vecILi256ELi1EL9ggml_type30ELS0_1ELb1EEvPKcS2_S2_S2_S2_PKiPfP15HIP_vector_typeIfLj2EEffffjfiS6_IjLj3EEiiiiiiiiiiiliiliiiiil,comdat
.Lfunc_end27:
	.size	_ZL18flash_attn_ext_vecILi256ELi1EL9ggml_type30ELS0_1ELb1EEvPKcS2_S2_S2_S2_PKiPfP15HIP_vector_typeIfLj2EEffffjfiS6_IjLj3EEiiiiiiiiiiiliiliiiiil, .Lfunc_end27-_ZL18flash_attn_ext_vecILi256ELi1EL9ggml_type30ELS0_1ELb1EEvPKcS2_S2_S2_S2_PKiPfP15HIP_vector_typeIfLj2EEffffjfiS6_IjLj3EEiiiiiiiiiiiliiliiiiil
                                        ; -- End function
	.section	.AMDGPU.csdata,"",@progbits
; Kernel info:
; codeLenInByte = 14408
; NumSgprs: 50
; NumVgprs: 240
; ScratchSize: 0
; MemoryBound: 0
; FloatMode: 240
; IeeeMode: 1
; LDSByteSize: 8448 bytes/workgroup (compile time only)
; SGPRBlocks: 6
; VGPRBlocks: 29
; NumSGPRsForWavesPerEU: 50
; NumVGPRsForWavesPerEU: 240
; Occupancy: 6
; WaveLimiterHint : 1
; COMPUTE_PGM_RSRC2:SCRATCH_EN: 0
; COMPUTE_PGM_RSRC2:USER_SGPR: 13
; COMPUTE_PGM_RSRC2:TRAP_HANDLER: 0
; COMPUTE_PGM_RSRC2:TGID_X_EN: 1
; COMPUTE_PGM_RSRC2:TGID_Y_EN: 1
; COMPUTE_PGM_RSRC2:TGID_Z_EN: 1
; COMPUTE_PGM_RSRC2:TIDIG_COMP_CNT: 1
	.section	.text._ZL18flash_attn_ext_vecILi256ELi2EL9ggml_type30ELS0_1ELb0EEvPKcS2_S2_S2_S2_PKiPfP15HIP_vector_typeIfLj2EEffffjfiS6_IjLj3EEiiiiiiiiiiiliiliiiiil,"axG",@progbits,_ZL18flash_attn_ext_vecILi256ELi2EL9ggml_type30ELS0_1ELb0EEvPKcS2_S2_S2_S2_PKiPfP15HIP_vector_typeIfLj2EEffffjfiS6_IjLj3EEiiiiiiiiiiiliiliiiiil,comdat
	.globl	_ZL18flash_attn_ext_vecILi256ELi2EL9ggml_type30ELS0_1ELb0EEvPKcS2_S2_S2_S2_PKiPfP15HIP_vector_typeIfLj2EEffffjfiS6_IjLj3EEiiiiiiiiiiiliiliiiiil ; -- Begin function _ZL18flash_attn_ext_vecILi256ELi2EL9ggml_type30ELS0_1ELb0EEvPKcS2_S2_S2_S2_PKiPfP15HIP_vector_typeIfLj2EEffffjfiS6_IjLj3EEiiiiiiiiiiiliiliiiiil
	.p2align	8
	.type	_ZL18flash_attn_ext_vecILi256ELi2EL9ggml_type30ELS0_1ELb0EEvPKcS2_S2_S2_S2_PKiPfP15HIP_vector_typeIfLj2EEffffjfiS6_IjLj3EEiiiiiiiiiiiliiliiiiil,@function
_ZL18flash_attn_ext_vecILi256ELi2EL9ggml_type30ELS0_1ELb0EEvPKcS2_S2_S2_S2_PKiPfP15HIP_vector_typeIfLj2EEffffjfiS6_IjLj3EEiiiiiiiiiiiliiliiiiil: ; @_ZL18flash_attn_ext_vecILi256ELi2EL9ggml_type30ELS0_1ELb0EEvPKcS2_S2_S2_S2_PKiPfP15HIP_vector_typeIfLj2EEffffjfiS6_IjLj3EEiiiiiiiiiiiliiliiiiil
; %bb.0:
	s_clause 0x3
	s_load_b64 s[34:35], s[0:1], 0x64
	s_load_b64 s[36:37], s[0:1], 0x80
	;; [unrolled: 1-line block ×3, first 2 shown]
	s_load_b128 s[8:11], s[0:1], 0x40
	v_mov_b32_e32 v21, 1.0
	s_waitcnt lgkmcnt(0)
	v_cvt_f32_u32_e32 v1, s35
	s_sub_i32 s3, 0, s35
	s_delay_alu instid0(VALU_DEP_1) | instskip(SKIP_2) | instid1(VALU_DEP_1)
	v_rcp_iflag_f32_e32 v1, v1
	s_waitcnt_depctr 0xfff
	v_mul_f32_e32 v1, 0x4f7ffffe, v1
	v_cvt_u32_f32_e32 v1, v1
	s_delay_alu instid0(VALU_DEP_1) | instskip(NEXT) | instid1(VALU_DEP_1)
	v_readfirstlane_b32 s2, v1
	s_mul_i32 s3, s3, s2
	s_delay_alu instid0(SALU_CYCLE_1) | instskip(NEXT) | instid1(SALU_CYCLE_1)
	s_mul_hi_u32 s3, s2, s3
	s_add_i32 s2, s2, s3
	s_delay_alu instid0(SALU_CYCLE_1) | instskip(NEXT) | instid1(SALU_CYCLE_1)
	s_mul_hi_u32 s2, s15, s2
	s_mul_i32 s3, s2, s35
	s_add_i32 s4, s2, 1
	s_sub_i32 s3, s15, s3
	s_delay_alu instid0(SALU_CYCLE_1)
	s_sub_i32 s5, s3, s35
	s_cmp_ge_u32 s3, s35
	s_cselect_b32 s2, s4, s2
	s_cselect_b32 s3, s5, s3
	s_add_i32 s4, s2, 1
	s_cmp_ge_u32 s3, s35
	s_cselect_b32 s33, s4, s2
	s_abs_i32 s2, s37
	s_abs_i32 s6, s35
	v_cvt_f32_u32_e32 v1, s2
	s_sub_i32 s4, 0, s2
	s_xor_b32 s5, s35, s37
	s_delay_alu instid0(SALU_CYCLE_1) | instskip(NEXT) | instid1(VALU_DEP_1)
	s_ashr_i32 s5, s5, 31
	v_rcp_iflag_f32_e32 v1, v1
	s_waitcnt_depctr 0xfff
	v_mul_f32_e32 v1, 0x4f7ffffe, v1
	s_delay_alu instid0(VALU_DEP_1) | instskip(NEXT) | instid1(VALU_DEP_1)
	v_cvt_u32_f32_e32 v1, v1
	v_readfirstlane_b32 s3, v1
	s_delay_alu instid0(VALU_DEP_1) | instskip(NEXT) | instid1(SALU_CYCLE_1)
	s_mul_i32 s4, s4, s3
	s_mul_hi_u32 s4, s3, s4
	s_delay_alu instid0(SALU_CYCLE_1) | instskip(SKIP_4) | instid1(SALU_CYCLE_1)
	s_add_i32 s3, s3, s4
	s_mul_i32 s4, s33, s35
	s_mul_hi_u32 s3, s6, s3
	s_sub_i32 s12, s15, s4
	s_mul_i32 s7, s3, s2
	s_sub_i32 s4, s6, s7
	s_add_i32 s6, s3, 1
	s_sub_i32 s7, s4, s2
	s_cmp_ge_u32 s4, s2
	s_cselect_b32 s3, s6, s3
	s_cselect_b32 s4, s7, s4
	s_add_i32 s6, s3, 1
	s_cmp_ge_u32 s4, s2
	s_cselect_b32 s2, s6, s3
	s_abs_i32 s43, s38
	s_xor_b32 s2, s2, s5
	v_cvt_f32_u32_e32 v1, s43
	s_sub_i32 s40, s2, s5
	s_load_b32 s2, s[0:1], 0x50
	s_abs_i32 s44, s40
	v_cmp_le_f32_e64 s3, s9, 0
	v_cvt_f32_u32_e32 v2, s44
	v_rcp_iflag_f32_e32 v1, v1
	s_delay_alu instid0(VALU_DEP_2) | instskip(NEXT) | instid1(VALU_DEP_1)
	s_and_b32 vcc_lo, exec_lo, s3
	v_rcp_iflag_f32_e32 v2, v2
	s_waitcnt_depctr 0xfff
	v_dual_mul_f32 v1, 0x4f7ffffe, v1 :: v_dual_mul_f32 v2, 0x4f7ffffe, v2
	s_delay_alu instid0(VALU_DEP_1) | instskip(NEXT) | instid1(VALU_DEP_2)
	v_cvt_u32_f32_e32 v1, v1
	v_cvt_u32_f32_e32 v2, v2
	s_delay_alu instid0(VALU_DEP_2) | instskip(NEXT) | instid1(VALU_DEP_2)
	v_readfirstlane_b32 s9, v1
	v_readfirstlane_b32 s41, v2
	s_cbranch_vccnz .LBB28_2
; %bb.1:
	s_waitcnt lgkmcnt(0)
	s_sub_i32 s3, s12, s2
	s_add_i32 s4, s12, 1
	s_lshl_b32 s3, s3, 1
	v_mov_b32_e32 v1, s10
	s_or_b32 s3, s3, 1
	s_cmp_lt_u32 s12, s2
	s_cselect_b32 vcc_lo, -1, 0
	s_delay_alu instid0(VALU_DEP_1)
	v_cndmask_b32_e32 v3, s11, v1, vcc_lo
	s_and_b32 s2, vcc_lo, exec_lo
	s_cselect_b32 s2, s4, s3
	s_mov_b32 s3, 0x3e76c4e1
	v_cvt_f32_i32_e32 v1, s2
	v_cmp_neq_f32_e32 vcc_lo, 1.0, v3
	s_delay_alu instid0(VALU_DEP_2) | instskip(NEXT) | instid1(VALU_DEP_1)
	v_cndmask_b32_e32 v4, 1.0, v1, vcc_lo
	v_cmp_eq_f32_e32 vcc_lo, 0, v4
	v_cndmask_b32_e64 v5, |v3|, 1.0, vcc_lo
	s_delay_alu instid0(VALU_DEP_1) | instskip(NEXT) | instid1(VALU_DEP_1)
	v_frexp_mant_f32_e32 v1, v5
	v_cmp_gt_f32_e64 s2, 0x3f2aaaab, v1
	s_delay_alu instid0(VALU_DEP_1) | instskip(NEXT) | instid1(VALU_DEP_1)
	v_cndmask_b32_e64 v2, 1.0, 2.0, s2
	v_mul_f32_e32 v1, v1, v2
	s_delay_alu instid0(VALU_DEP_1) | instskip(SKIP_1) | instid1(VALU_DEP_2)
	v_add_f32_e32 v2, 1.0, v1
	v_add_f32_e32 v7, -1.0, v1
	v_rcp_f32_e32 v6, v2
	s_waitcnt_depctr 0xfff
	v_mul_f32_e32 v8, v7, v6
	s_delay_alu instid0(VALU_DEP_1) | instskip(NEXT) | instid1(VALU_DEP_1)
	v_dual_add_f32 v9, -1.0, v2 :: v_dual_mul_f32 v10, v2, v8
	v_sub_f32_e32 v1, v1, v9
	v_cndmask_b32_e64 v3, v3, 1.0, vcc_lo
	s_delay_alu instid0(VALU_DEP_3) | instskip(NEXT) | instid1(VALU_DEP_2)
	v_fma_f32 v2, v8, v2, -v10
	v_cmp_eq_f32_e64 s4, 0, v3
	s_delay_alu instid0(VALU_DEP_2) | instskip(NEXT) | instid1(VALU_DEP_1)
	v_fmac_f32_e32 v2, v8, v1
	v_add_f32_e32 v1, v10, v2
	s_delay_alu instid0(VALU_DEP_1) | instskip(NEXT) | instid1(VALU_DEP_1)
	v_dual_sub_f32 v10, v1, v10 :: v_dual_sub_f32 v9, v7, v1
	v_dual_sub_f32 v2, v10, v2 :: v_dual_sub_f32 v7, v7, v9
	s_delay_alu instid0(VALU_DEP_1) | instskip(NEXT) | instid1(VALU_DEP_1)
	v_sub_f32_e32 v1, v7, v1
	v_add_f32_e32 v1, v2, v1
	s_delay_alu instid0(VALU_DEP_1) | instskip(NEXT) | instid1(VALU_DEP_1)
	v_add_f32_e32 v1, v9, v1
	v_mul_f32_e32 v1, v6, v1
	s_delay_alu instid0(VALU_DEP_1) | instskip(NEXT) | instid1(VALU_DEP_1)
	v_add_f32_e32 v6, v8, v1
	v_sub_f32_e32 v2, v6, v8
	v_mul_f32_e32 v7, v6, v6
	s_delay_alu instid0(VALU_DEP_2) | instskip(NEXT) | instid1(VALU_DEP_2)
	v_sub_f32_e32 v8, v1, v2
	v_fma_f32 v9, v6, v6, -v7
	s_delay_alu instid0(VALU_DEP_2) | instskip(NEXT) | instid1(VALU_DEP_1)
	v_add_f32_e32 v1, v8, v8
	v_fmac_f32_e32 v9, v6, v1
	v_cvt_f64_f32_e32 v[1:2], v5
	s_delay_alu instid0(VALU_DEP_2) | instskip(NEXT) | instid1(VALU_DEP_1)
	v_add_f32_e32 v10, v7, v9
	v_fmaak_f32 v11, s3, v10, 0x3e91f4c4
	v_sub_f32_e32 v7, v10, v7
	v_mul_f32_e32 v14, v6, v10
	s_delay_alu instid0(VALU_DEP_3) | instskip(NEXT) | instid1(VALU_DEP_3)
	v_fmaak_f32 v11, v10, v11, 0x3ecccdef
	v_sub_f32_e32 v7, v9, v7
	s_delay_alu instid0(VALU_DEP_2) | instskip(NEXT) | instid1(VALU_DEP_1)
	v_mul_f32_e32 v12, v10, v11
	v_fma_f32 v9, v10, v11, -v12
	s_delay_alu instid0(VALU_DEP_1) | instskip(NEXT) | instid1(VALU_DEP_1)
	v_fmac_f32_e32 v9, v7, v11
	v_add_f32_e32 v11, v12, v9
	v_frexp_exp_i32_f64_e32 v1, v[1:2]
	s_delay_alu instid0(VALU_DEP_2) | instskip(NEXT) | instid1(VALU_DEP_1)
	v_sub_f32_e32 v12, v11, v12
	v_sub_f32_e32 v2, v9, v12
	v_fma_f32 v12, v10, v6, -v14
	s_delay_alu instid0(VALU_DEP_2) | instskip(NEXT) | instid1(VALU_DEP_2)
	v_add_f32_e32 v2, 0x31739010, v2
	v_dual_add_f32 v13, 0x3f2aaaaa, v11 :: v_dual_fmac_f32 v12, v10, v8
	v_ldexp_f32 v8, v8, 1
	s_delay_alu instid0(VALU_DEP_2) | instskip(NEXT) | instid1(VALU_DEP_1)
	v_dual_add_f32 v9, 0xbf2aaaaa, v13 :: v_dual_fmac_f32 v12, v7, v6
	v_sub_f32_e32 v9, v11, v9
	s_delay_alu instid0(VALU_DEP_1) | instskip(NEXT) | instid1(VALU_DEP_3)
	v_add_f32_e32 v2, v2, v9
	v_add_f32_e32 v9, v14, v12
	s_delay_alu instid0(VALU_DEP_2) | instskip(NEXT) | instid1(VALU_DEP_1)
	v_add_f32_e32 v7, v13, v2
	v_sub_f32_e32 v10, v13, v7
	s_delay_alu instid0(VALU_DEP_3) | instskip(SKIP_2) | instid1(VALU_DEP_4)
	v_mul_f32_e32 v11, v9, v7
	v_sub_f32_e32 v13, v9, v14
	v_subrev_co_ci_u32_e64 v1, s2, 0, v1, s2
	v_add_f32_e32 v2, v2, v10
	s_delay_alu instid0(VALU_DEP_4) | instskip(NEXT) | instid1(VALU_DEP_4)
	v_fma_f32 v10, v9, v7, -v11
	v_sub_f32_e32 v12, v12, v13
	s_delay_alu instid0(VALU_DEP_4) | instskip(NEXT) | instid1(VALU_DEP_3)
	v_cvt_f32_i32_e32 v1, v1
	v_fmac_f32_e32 v10, v9, v2
	v_ldexp_f32 v2, v6, 1
	s_delay_alu instid0(VALU_DEP_2) | instskip(NEXT) | instid1(VALU_DEP_1)
	v_fmac_f32_e32 v10, v12, v7
	v_add_f32_e32 v6, v11, v10
	s_delay_alu instid0(VALU_DEP_1) | instskip(NEXT) | instid1(VALU_DEP_1)
	v_add_f32_e32 v7, v2, v6
	v_dual_sub_f32 v2, v7, v2 :: v_dual_sub_f32 v9, v6, v11
	s_delay_alu instid0(VALU_DEP_1) | instskip(NEXT) | instid1(VALU_DEP_2)
	v_sub_f32_e32 v2, v6, v2
	v_sub_f32_e32 v9, v10, v9
	s_delay_alu instid0(VALU_DEP_1) | instskip(NEXT) | instid1(VALU_DEP_1)
	v_add_f32_e32 v6, v8, v9
	v_dual_mul_f32 v11, 0x3f317218, v1 :: v_dual_add_f32 v2, v6, v2
	s_delay_alu instid0(VALU_DEP_1) | instskip(NEXT) | instid1(VALU_DEP_2)
	v_fma_f32 v10, 0x3f317218, v1, -v11
	v_add_f32_e32 v8, v7, v2
	s_delay_alu instid0(VALU_DEP_1) | instskip(NEXT) | instid1(VALU_DEP_1)
	v_sub_f32_e32 v7, v8, v7
	v_dual_fmamk_f32 v1, v1, 0xb102e308, v10 :: v_dual_sub_f32 v2, v2, v7
	s_delay_alu instid0(VALU_DEP_1) | instskip(NEXT) | instid1(VALU_DEP_1)
	v_add_f32_e32 v6, v11, v1
	v_add_f32_e32 v9, v6, v8
	s_delay_alu instid0(VALU_DEP_1) | instskip(NEXT) | instid1(VALU_DEP_1)
	v_dual_sub_f32 v11, v6, v11 :: v_dual_sub_f32 v10, v9, v6
	v_sub_f32_e32 v12, v9, v10
	s_delay_alu instid0(VALU_DEP_2) | instskip(NEXT) | instid1(VALU_DEP_2)
	v_sub_f32_e32 v1, v1, v11
	v_dual_sub_f32 v7, v8, v10 :: v_dual_sub_f32 v6, v6, v12
	s_delay_alu instid0(VALU_DEP_2) | instskip(NEXT) | instid1(VALU_DEP_2)
	v_add_f32_e32 v8, v1, v2
	v_add_f32_e32 v6, v7, v6
	s_delay_alu instid0(VALU_DEP_1) | instskip(NEXT) | instid1(VALU_DEP_1)
	v_add_f32_e32 v6, v8, v6
	v_dual_sub_f32 v7, v8, v1 :: v_dual_add_f32 v10, v9, v6
	s_delay_alu instid0(VALU_DEP_1) | instskip(SKIP_1) | instid1(VALU_DEP_3)
	v_sub_f32_e32 v8, v8, v7
	v_sub_f32_e32 v2, v2, v7
	;; [unrolled: 1-line block ×3, first 2 shown]
	s_delay_alu instid0(VALU_DEP_3) | instskip(NEXT) | instid1(VALU_DEP_1)
	v_sub_f32_e32 v1, v1, v8
	v_add_f32_e32 v1, v2, v1
	s_delay_alu instid0(VALU_DEP_3) | instskip(NEXT) | instid1(VALU_DEP_1)
	v_sub_f32_e32 v2, v6, v7
	v_add_f32_e32 v1, v1, v2
	s_delay_alu instid0(VALU_DEP_1) | instskip(NEXT) | instid1(VALU_DEP_1)
	v_add_f32_e32 v2, v10, v1
	v_mul_f32_e32 v7, v4, v2
	v_sub_f32_e32 v6, v2, v10
	s_delay_alu instid0(VALU_DEP_2) | instskip(NEXT) | instid1(VALU_DEP_2)
	v_fma_f32 v2, v4, v2, -v7
	v_sub_f32_e32 v1, v1, v6
	v_cmp_class_f32_e64 s2, v7, 0x204
	s_delay_alu instid0(VALU_DEP_2) | instskip(NEXT) | instid1(VALU_DEP_1)
	v_fmac_f32_e32 v2, v4, v1
	v_add_f32_e32 v1, v7, v2
	s_delay_alu instid0(VALU_DEP_1) | instskip(NEXT) | instid1(VALU_DEP_1)
	v_cndmask_b32_e64 v6, v1, v7, s2
	v_cmp_eq_f32_e64 s2, 0x42b17218, v6
	s_delay_alu instid0(VALU_DEP_1) | instskip(SKIP_1) | instid1(VALU_DEP_2)
	v_cndmask_b32_e64 v8, 0, 0x37000000, s2
	v_cmp_neq_f32_e64 s2, 0x7f800000, |v6|
	v_sub_f32_e32 v9, v6, v8
	v_trunc_f32_e32 v6, v4
	s_delay_alu instid0(VALU_DEP_2) | instskip(NEXT) | instid1(VALU_DEP_1)
	v_mul_f32_e32 v10, 0x3fb8aa3b, v9
	v_fma_f32 v11, 0x3fb8aa3b, v9, -v10
	v_rndne_f32_e32 v12, v10
	s_delay_alu instid0(VALU_DEP_1) | instskip(NEXT) | instid1(VALU_DEP_1)
	v_dual_fmamk_f32 v11, v9, 0x32a5705f, v11 :: v_dual_sub_f32 v10, v10, v12
	v_add_f32_e32 v10, v10, v11
	v_sub_f32_e32 v1, v1, v7
	v_cvt_i32_f32_e32 v7, v12
	s_delay_alu instid0(VALU_DEP_3) | instskip(NEXT) | instid1(VALU_DEP_2)
	v_exp_f32_e32 v10, v10
	v_sub_f32_e32 v1, v2, v1
	s_delay_alu instid0(VALU_DEP_1)
	v_cndmask_b32_e64 v1, 0, v1, s2
	v_cmp_ngt_f32_e64 s2, 0xc2ce8ed0, v9
	s_waitcnt_depctr 0xfff
	v_ldexp_f32 v2, v10, v7
	v_mul_f32_e32 v7, 0.5, v4
	v_add_f32_e32 v1, v8, v1
	s_delay_alu instid0(VALU_DEP_3) | instskip(NEXT) | instid1(VALU_DEP_3)
	v_cndmask_b32_e64 v2, 0, v2, s2
	v_trunc_f32_e32 v10, v7
	v_cmp_nlt_f32_e64 s2, 0x42b17218, v9
	s_delay_alu instid0(VALU_DEP_2) | instskip(NEXT) | instid1(VALU_DEP_2)
	v_cmp_neq_f32_e64 s3, v10, v7
	v_cndmask_b32_e64 v2, 0x7f800000, v2, s2
	v_cmp_eq_f32_e64 s2, v6, v4
	s_delay_alu instid0(VALU_DEP_2) | instskip(NEXT) | instid1(VALU_DEP_2)
	v_fma_f32 v1, v2, v1, v2
	s_and_b32 vcc_lo, s2, s3
	v_cmp_class_f32_e64 s3, v2, 0x204
	v_cndmask_b32_e32 v6, 1.0, v3, vcc_lo
	s_delay_alu instid0(VALU_DEP_2) | instskip(SKIP_1) | instid1(VALU_DEP_2)
	v_cndmask_b32_e64 v1, v1, v2, s3
	v_cmp_gt_f32_e64 s3, 0, v4
	v_bfi_b32 v1, 0x7fffffff, v1, v6
	v_cndmask_b32_e32 v6, 0, v3, vcc_lo
	s_delay_alu instid0(VALU_DEP_3)
	s_xor_b32 s3, s3, s4
	v_cmp_eq_f32_e32 vcc_lo, 0x7f800000, v5
	v_cndmask_b32_e64 v2, 0x7f800000, 0, s3
	v_cndmask_b32_e64 v4, 0x7fc00000, v1, s2
	v_cmp_gt_f32_e64 s2, 0, v3
	s_or_b32 vcc_lo, vcc_lo, s4
	s_delay_alu instid0(VALU_DEP_3) | instskip(NEXT) | instid1(VALU_DEP_2)
	v_bfi_b32 v2, 0x7fffffff, v2, v6
	v_cndmask_b32_e64 v1, v1, v4, s2
	s_delay_alu instid0(VALU_DEP_1) | instskip(SKIP_1) | instid1(VALU_DEP_2)
	v_cndmask_b32_e32 v1, v1, v2, vcc_lo
	v_cmp_o_f32_e32 vcc_lo, v3, v3
	v_cndmask_b32_e32 v21, 0x7fc00000, v1, vcc_lo
.LBB28_2:
	s_clause 0x1
	s_load_b128 s[4:7], s[0:1], 0x70
	s_load_b512 s[16:31], s[0:1], 0x0
	v_dual_mov_b32 v9, 0 :: v_dual_and_b32 v78, 0x3ff, v0
	s_lshl_b32 s15, s13, 1
	s_mov_b32 s48, 0
	v_dual_mov_b32 v6, 0 :: v_dual_mov_b32 v7, 0
	s_delay_alu instid0(VALU_DEP_2)
	v_dual_mov_b32 v10, v9 :: v_dual_lshlrev_b32 v79, 2, v78
	s_mov_b32 s49, s48
	s_mov_b32 s50, s48
	;; [unrolled: 1-line block ×3, first 2 shown]
	v_dual_mov_b32 v1, s48 :: v_dual_mov_b32 v2, s49
	v_dual_mov_b32 v3, s50 :: v_dual_mov_b32 v4, s51
	v_dual_mov_b32 v11, v9 :: v_dual_and_b32 v88, 28, v79
	s_clause 0x1
	scratch_store_b32 off, v9, off
	scratch_store_b128 off, v[1:4], off offset:4
	s_waitcnt lgkmcnt(0)
	s_mul_i32 s2, s33, s6
	s_mul_i32 s3, s15, s4
	;; [unrolled: 1-line block ×3, first 2 shown]
	s_add_i32 s2, s2, s3
	s_clause 0x1
	scratch_store_b128 off, v[1:4], off offset:20
	scratch_store_b128 off, v[1:4], off offset:36
	s_add_i32 s2, s2, s5
	s_clause 0x1
	scratch_store_b128 off, v[1:4], off offset:52
	scratch_store_b128 off, v[1:4], off offset:68
	s_ashr_i32 s3, s2, 31
	s_add_u32 s2, s16, s2
	s_addc_u32 s3, s17, s3
	s_cmp_lt_i32 s15, s34
	s_clause 0x1
	scratch_store_b128 off, v[1:4], off offset:84
	scratch_store_b128 off, v[1:4], off offset:100
	s_cselect_b32 s42, -1, 0
	s_cmp_ge_i32 s15, s34
	v_dual_mov_b32 v1, 0 :: v_dual_lshlrev_b32 v12, 3, v88
	v_dual_mov_b32 v2, 0 :: v_dual_mov_b32 v3, 0
	v_dual_mov_b32 v4, 0 :: v_dual_mov_b32 v5, 0
	v_mov_b32_e32 v8, 0
	s_cselect_b32 s37, -1, 0
	scratch_store_b96 off, v[9:11], off offset:116
	s_and_b32 vcc_lo, exec_lo, s37
	s_cbranch_vccnz .LBB28_4
; %bb.3:
	s_clause 0x1
	global_load_b128 v[1:4], v12, s[2:3]
	global_load_b128 v[5:8], v12, s[2:3] offset:16
.LBB28_4:
	v_dual_mov_b32 v28, 0 :: v_dual_mov_b32 v29, 0
	v_dual_mov_b32 v30, 0 :: v_dual_mov_b32 v25, 0
	;; [unrolled: 1-line block ×3, first 2 shown]
	v_mov_b32_e32 v24, 0
	s_and_not1_b32 vcc_lo, exec_lo, s42
	s_cbranch_vccnz .LBB28_6
; %bb.5:
	s_clause 0x1
	global_load_b128 v[16:19], v12, s[2:3] offset:256
	global_load_b128 v[31:34], v12, s[2:3] offset:272
	s_waitcnt vmcnt(1)
	v_cvt_f16_f32_e32 v9, v16
	v_cvt_f16_f32_e32 v28, v17
	;; [unrolled: 1-line block ×4, first 2 shown]
	s_waitcnt vmcnt(0)
	v_cvt_f16_f32_e32 v25, v31
	v_cvt_f16_f32_e32 v26, v32
	;; [unrolled: 1-line block ×4, first 2 shown]
.LBB28_6:
	v_dual_mov_b32 v27, 0 :: v_dual_mov_b32 v38, 0
	v_dual_mov_b32 v39, 0 :: v_dual_mov_b32 v40, 0
	v_dual_mov_b32 v41, 0 :: v_dual_mov_b32 v42, 0
	v_dual_mov_b32 v43, 0 :: v_dual_mov_b32 v44, 0
	v_mov_b32_e32 v45, 0
	s_and_not1_b32 vcc_lo, exec_lo, s42
	s_cbranch_vccnz .LBB28_8
; %bb.7:
	s_clause 0x1
	global_load_b128 v[16:19], v12, s[2:3] offset:512
	global_load_b128 v[31:34], v12, s[2:3] offset:528
	s_waitcnt vmcnt(1)
	v_cvt_f16_f32_e32 v38, v16
	v_cvt_f16_f32_e32 v39, v17
	;; [unrolled: 1-line block ×4, first 2 shown]
	s_waitcnt vmcnt(0)
	v_cvt_f16_f32_e32 v42, v31
	v_cvt_f16_f32_e32 v43, v32
	;; [unrolled: 1-line block ×4, first 2 shown]
.LBB28_8:
	v_dual_mov_b32 v31, 0 :: v_dual_mov_b32 v32, 0
	v_dual_mov_b32 v33, 0 :: v_dual_mov_b32 v34, 0
	;; [unrolled: 1-line block ×3, first 2 shown]
	v_mov_b32_e32 v37, 0
	s_and_not1_b32 vcc_lo, exec_lo, s42
	s_cbranch_vccnz .LBB28_10
; %bb.9:
	s_clause 0x1
	global_load_b128 v[16:19], v12, s[2:3] offset:768
	global_load_b128 v[34:37], v12, s[2:3] offset:784
	s_waitcnt vmcnt(1)
	v_cvt_f16_f32_e32 v27, v16
	v_cvt_f16_f32_e32 v31, v17
	;; [unrolled: 1-line block ×4, first 2 shown]
	s_waitcnt vmcnt(0)
	v_cvt_f16_f32_e32 v34, v34
	v_cvt_f16_f32_e32 v35, v35
	;; [unrolled: 1-line block ×4, first 2 shown]
.LBB28_10:
	s_ashr_i32 s5, s4, 31
	s_add_u32 s2, s2, s4
	s_addc_u32 s3, s3, s5
	s_or_b32 s4, s15, 1
	v_dual_mov_b32 v49, 0 :: v_dual_mov_b32 v46, 0
	v_dual_mov_b32 v47, 0 :: v_dual_mov_b32 v48, 0
	;; [unrolled: 1-line block ×4, first 2 shown]
	v_mov_b32_e32 v54, 0
	s_cmp_lt_i32 s4, s34
	s_cselect_b32 s45, -1, 0
	s_cmp_ge_i32 s4, s34
	s_cbranch_scc1 .LBB28_12
; %bb.11:
	s_clause 0x1
	global_load_b128 v[16:19], v12, s[2:3]
	global_load_b128 v[51:54], v12, s[2:3] offset:16
	s_waitcnt vmcnt(1)
	v_cvt_f16_f32_e32 v46, v16
	v_cvt_f16_f32_e32 v47, v17
	;; [unrolled: 1-line block ×4, first 2 shown]
	s_waitcnt vmcnt(0)
	v_cvt_f16_f32_e32 v51, v51
	v_cvt_f16_f32_e32 v52, v52
	;; [unrolled: 1-line block ×4, first 2 shown]
.LBB28_12:
	v_cndmask_b32_e64 v82, 0, 1, s45
	v_dual_mov_b32 v55, 0 :: v_dual_mov_b32 v56, 0
	v_dual_mov_b32 v57, 0 :: v_dual_mov_b32 v58, 0
	v_dual_mov_b32 v59, 0 :: v_dual_mov_b32 v60, 0
	v_mov_b32_e32 v61, 0
	s_and_not1_b32 vcc_lo, exec_lo, s45
	s_cbranch_vccnz .LBB28_14
; %bb.13:
	s_clause 0x1
	global_load_b128 v[55:58], v12, s[2:3] offset:256
	global_load_b128 v[59:62], v12, s[2:3] offset:272
	s_waitcnt vmcnt(1)
	v_cvt_f16_f32_e32 v49, v55
	v_cvt_f16_f32_e32 v55, v56
	;; [unrolled: 1-line block ×4, first 2 shown]
	s_waitcnt vmcnt(0)
	v_cvt_f16_f32_e32 v58, v59
	v_cvt_f16_f32_e32 v59, v60
	;; [unrolled: 1-line block ×4, first 2 shown]
.LBB28_14:
	v_dual_mov_b32 v62, 0 :: v_dual_mov_b32 v63, 0
	v_dual_mov_b32 v64, 0 :: v_dual_mov_b32 v65, 0
	;; [unrolled: 1-line block ×4, first 2 shown]
	v_mov_b32_e32 v70, 0
	s_and_not1_b32 vcc_lo, exec_lo, s45
	s_cbranch_vccnz .LBB28_16
; %bb.15:
	s_clause 0x1
	global_load_b128 v[63:66], v12, s[2:3] offset:512
	global_load_b128 v[67:70], v12, s[2:3] offset:528
	s_waitcnt vmcnt(1)
	v_cvt_f16_f32_e32 v63, v63
	v_cvt_f16_f32_e32 v64, v64
	;; [unrolled: 1-line block ×4, first 2 shown]
	s_waitcnt vmcnt(0)
	v_cvt_f16_f32_e32 v67, v67
	v_cvt_f16_f32_e32 v68, v68
	;; [unrolled: 1-line block ×4, first 2 shown]
.LBB28_16:
	v_dual_mov_b32 v71, 0 :: v_dual_mov_b32 v72, 0
	v_dual_mov_b32 v73, 0 :: v_dual_mov_b32 v74, 0
	;; [unrolled: 1-line block ×3, first 2 shown]
	v_mov_b32_e32 v77, 0
	s_and_not1_b32 vcc_lo, exec_lo, s45
	s_cbranch_vccnz .LBB28_18
; %bb.17:
	s_clause 0x1
	global_load_b128 v[71:74], v12, s[2:3] offset:768
	global_load_b128 v[10:13], v12, s[2:3] offset:784
	s_waitcnt vmcnt(1)
	v_cvt_f16_f32_e32 v62, v71
	v_cvt_f16_f32_e32 v71, v72
	;; [unrolled: 1-line block ×4, first 2 shown]
	s_waitcnt vmcnt(0)
	v_cvt_f16_f32_e32 v74, v10
	v_cvt_f16_f32_e32 v75, v11
	;; [unrolled: 1-line block ×4, first 2 shown]
.LBB28_18:
	s_cmp_eq_u64 s[26:27], 0
	s_mov_b32 s38, s36
	s_cbranch_scc1 .LBB28_20
; %bb.19:
	s_load_b32 s2, s[0:1], 0xd0
	s_mov_b32 s3, 0
	s_waitcnt lgkmcnt(0)
	s_mul_i32 s2, s2, s33
	s_delay_alu instid0(SALU_CYCLE_1) | instskip(NEXT) | instid1(SALU_CYCLE_1)
	s_add_i32 s2, s2, s13
	s_lshl_b64 s[2:3], s[2:3], 2
	s_delay_alu instid0(SALU_CYCLE_1)
	s_add_u32 s2, s26, s2
	s_addc_u32 s3, s27, s3
	s_load_b32 s38, s[2:3], 0x0
.LBB28_20:
	v_bfe_u32 v81, v0, 10, 10
	s_mov_b32 s27, 0
	s_mov_b32 s2, 0xfeffffff
	;; [unrolled: 1-line block ×4, first 2 shown]
	v_lshlrev_b32_e32 v0, 5, v81
	v_dual_mov_b32 v10, s26 :: v_dual_mov_b32 v11, s27
	v_mbcnt_lo_u32_b32 v91, -1, 0
	s_lshl_b32 s16, s14, 7
	s_delay_alu instid0(VALU_DEP_3) | instskip(SKIP_3) | instid1(VALU_DEP_2)
	v_dual_mov_b32 v13, s3 :: v_dual_add_nc_u32 v80, v0, v78
	v_mov_b32_e32 v12, s2
	s_waitcnt lgkmcnt(0)
	s_cmp_ge_i32 s16, s38
	v_lshlrev_b32_e32 v18, 1, v80
	s_cbranch_scc1 .LBB28_57
; %bb.21:
	s_waitcnt vmcnt(1)
	v_cvt_f16_f32_e32 v1, v1
	v_cvt_f16_f32_e32 v2, v2
	;; [unrolled: 1-line block ×4, first 2 shown]
	s_waitcnt vmcnt(0)
	v_cvt_f16_f32_e32 v7, v7
	v_cvt_f16_f32_e32 v8, v8
	v_perm_b32 v19, v47, v46, 0x5040100
	v_cvt_f16_f32_e32 v47, s8
	v_pack_b32_f16 v1, v1, v2
	v_pack_b32_f16 v2, v3, v4
	;; [unrolled: 1-line block ×3, first 2 shown]
	v_perm_b32 v7, v35, v34, 0x5040100
	v_perm_b32 v8, v37, v36, 0x5040100
	v_perm_b32 v22, v52, v51, 0x5040100
	v_perm_b32 v46, v54, v53, 0x5040100
	v_perm_b32 v9, v28, v9, 0x5040100
	v_pk_mul_f16 v52, v47, v7 op_sel_hi:[0,1]
	v_pk_mul_f16 v54, v47, v8 op_sel_hi:[0,1]
	v_xor_b32_e32 v8, 4, v91
	v_and_b32_e32 v7, 24, v91
	v_cvt_f16_f32_e32 v5, v5
	v_cvt_f16_f32_e32 v6, v6
	v_perm_b32 v23, v24, v23, 0x5040100
	v_xor_b32_e32 v24, 1, v91
	v_add_nc_u32_e32 v7, 8, v7
	v_perm_b32 v10, v64, v63, 0x5040100
	v_pack_b32_f16 v3, v5, v6
	v_perm_b32 v6, v33, v32, 0x5040100
	v_pk_mul_f16 v32, v47, v9 op_sel_hi:[0,1]
	v_xor_b32_e32 v9, 2, v91
	v_cmp_lt_i32_e32 vcc_lo, v8, v7
	v_perm_b32 v14, v55, v49, 0x5040100
	v_perm_b32 v49, v73, v72, 0x5040100
	v_pk_mul_f16 v72, v47, v10 op_sel_hi:[0,1]
	v_perm_b32 v10, v39, v38, 0x5040100
	v_cndmask_b32_e32 v8, v91, v8, vcc_lo
	v_cmp_lt_i32_e32 vcc_lo, v9, v7
	v_perm_b32 v38, v41, v40, 0x5040100
	v_perm_b32 v28, v30, v29, 0x5040100
	v_pk_mul_f16 v41, v47, v10 op_sel_hi:[0,1]
	v_dual_cndmask_b32 v9, v91, v9 :: v_dual_and_b32 v10, 0x78, v78
	v_cmp_lt_i32_e32 vcc_lo, v24, v7
	v_perm_b32 v25, v26, v25, 0x5040100
	v_pk_mul_f16 v1, v47, v1 op_sel_hi:[0,1]
	v_pk_mul_f16 v2, v47, v2 op_sel_hi:[0,1]
	;; [unrolled: 1-line block ×3, first 2 shown]
	v_cndmask_b32_e32 v24, v91, v24, vcc_lo
	v_pk_mul_f16 v4, v47, v4 op_sel_hi:[0,1]
	v_lshlrev_b32_e32 v7, 2, v8
	v_lshlrev_b32_e32 v8, 2, v9
	v_perm_b32 v5, v31, v27, 0x5040100
	v_lshlrev_b32_e32 v9, 2, v24
	v_dual_mov_b32 v127, 0xfeffffff :: v_dual_lshlrev_b32 v24, 3, v78
	v_pk_mul_f16 v34, v47, v28 op_sel_hi:[0,1]
	v_pk_mul_f16 v36, v47, v25 op_sel_hi:[0,1]
	v_lshrrev_b32_e32 v25, 16, v1
	s_delay_alu instid0(VALU_DEP_4)
	v_and_b32_e32 v95, 56, v24
	v_lshrrev_b32_e32 v27, 16, v2
	v_cvt_f32_f16_e32 v24, v1
	v_lshrrev_b32_e32 v1, 16, v3
	v_cvt_f32_f16_e32 v26, v2
	v_lshrrev_b32_e32 v2, 16, v4
	v_pk_mul_f16 v23, v47, v23 op_sel_hi:[0,1]
	s_sub_i32 s2, 0, s44
	v_cvt_f32_f16_e32 v29, v1
	v_lshrrev_b32_e32 v1, 16, v32
	v_cvt_f32_f16_e32 v31, v2
	v_lshrrev_b32_e32 v2, 16, v34
	s_sub_i32 s3, 0, s43
	v_perm_b32 v39, v43, v42, 0x5040100
	v_perm_b32 v40, v45, v44, 0x5040100
	v_pk_mul_f16 v42, v47, v38 op_sel_hi:[0,1]
	v_cvt_f32_f16_e32 v33, v1
	v_lshrrev_b32_e32 v1, 16, v36
	v_cvt_f32_f16_e32 v35, v2
	v_lshrrev_b32_e32 v2, 16, v23
	s_mul_i32 s2, s2, s41
	s_mul_i32 s3, s3, s9
	s_mul_hi_u32 s2, s41, s2
	s_mul_hi_u32 s3, s9, s3
	s_abs_i32 s4, s12
	s_add_i32 s41, s41, s2
	s_abs_i32 s7, s33
	s_add_i32 s9, s9, s3
	v_perm_b32 v20, v50, v48, 0x5040100
	v_perm_b32 v48, v71, v62, 0x5040100
	v_pk_mul_f16 v62, v47, v46 op_sel_hi:[0,1]
	v_pk_mul_f16 v44, v47, v39 op_sel_hi:[0,1]
	;; [unrolled: 1-line block ×3, first 2 shown]
	v_cvt_f32_f16_e32 v37, v1
	v_lshrrev_b32_e32 v1, 16, v41
	v_cvt_f32_f16_e32 v39, v2
	v_lshrrev_b32_e32 v2, 16, v42
	s_clause 0x3
	scratch_store_b32 off, v82, off offset:256
	scratch_store_b32 off, v81, off offset:252
	;; [unrolled: 1-line block ×4, first 2 shown]
	s_mul_hi_u32 s2, s4, s41
	s_mul_hi_u32 s13, s7, s9
	s_ashr_i32 s5, s40, 31
	s_clause 0x1
	s_load_b64 s[40:41], s[0:1], 0x8c
	s_load_b128 s[8:11], s[0:1], 0x98
	v_perm_b32 v11, v66, v65, 0x5040100
	v_perm_b32 v12, v68, v67, 0x5040100
	;; [unrolled: 1-line block ×8, first 2 shown]
	v_pk_mul_f16 v5, v47, v5 op_sel_hi:[0,1]
	v_pk_mul_f16 v6, v47, v6 op_sel_hi:[0,1]
	v_cvt_f32_f16_e32 v40, v41
	v_cvt_f32_f16_e32 v41, v1
	v_lshrrev_b32_e32 v1, 16, v44
	v_cvt_f32_f16_e32 v43, v2
	v_lshrrev_b32_e32 v2, 16, v46
	v_pk_mul_f16 v19, v47, v19 op_sel_hi:[0,1]
	v_pk_mul_f16 v20, v47, v20 op_sel_hi:[0,1]
	;; [unrolled: 1-line block ×14, first 2 shown]
	v_cvt_f32_f16_e32 v45, v1
	v_lshrrev_b32_e32 v1, 16, v5
	v_cvt_f32_f16_e32 v47, v2
	v_lshrrev_b32_e32 v2, 16, v6
	s_ashr_i32 s6, s33, 31
	s_waitcnt lgkmcnt(0)
	s_mul_i32 s9, s33, s9
	v_cvt_f32_f16_e32 v49, v1
	v_lshrrev_b32_e32 v1, 16, v52
	v_cvt_f32_f16_e32 v51, v2
	v_lshrrev_b32_e32 v2, 16, v54
	s_mul_hi_u32 s17, s33, s8
	s_ashr_i32 s3, s12, 31
	v_cvt_f32_f16_e32 v53, v1
	v_lshrrev_b32_e32 v1, 16, v19
	v_cvt_f32_f16_e32 v55, v2
	v_lshrrev_b32_e32 v2, 16, v20
	s_add_i32 s9, s17, s9
	s_mul_i32 s17, s6, s8
	v_cvt_f32_f16_e32 v57, v1
	v_lshrrev_b32_e32 v1, 16, v22
	v_cvt_f32_f16_e32 v59, v2
	v_lshrrev_b32_e32 v2, 16, v62
	s_add_i32 s9, s9, s17
	s_mul_i32 s17, s2, s44
	s_xor_b32 s3, s3, s5
	s_sub_i32 s17, s4, s17
	s_load_b64 s[4:5], s[0:1], 0xa8
	s_add_i32 s26, s2, 1
	s_sub_i32 s46, s17, s44
	v_cvt_f32_f16_e32 v61, v1
	v_lshrrev_b32_e32 v1, 16, v14
	v_cvt_f32_f16_e32 v63, v2
	v_lshrrev_b32_e32 v2, 16, v15
	s_cmp_ge_u32 s17, s44
	v_cvt_f32_f16_e32 v28, v3
	s_cselect_b32 s2, s26, s2
	v_lshrrev_b32_e32 v3, 16, v84
	s_cselect_b32 s17, s46, s17
	s_add_i32 s26, s2, 1
	v_cvt_f32_f16_e32 v65, v1
	v_lshrrev_b32_e32 v1, 16, v16
	v_cvt_f32_f16_e32 v67, v2
	v_lshrrev_b32_e32 v2, 16, v17
	s_cmp_ge_u32 s17, s44
	v_cvt_f32_f16_e32 v85, v3
	s_cselect_b32 s2, s26, s2
	v_xor_b32_e32 v3, 8, v91
	s_xor_b32 s2, s2, s3
	v_cvt_f32_f16_e32 v69, v1
	v_lshrrev_b32_e32 v1, 16, v72
	v_cvt_f32_f16_e32 v71, v2
	v_lshrrev_b32_e32 v2, 16, v11
	s_sub_i32 s17, s2, s3
	v_cmp_gt_i32_e32 vcc_lo, 32, v3
	v_add_nc_u32_e32 v94, v0, v10
	s_mul_i32 s2, s17, s41
	s_mul_i32 s3, s33, s8
	v_cvt_f32_f16_e32 v73, v1
	v_cndmask_b32_e32 v3, v91, v3, vcc_lo
	v_lshrrev_b32_e32 v1, 16, v12
	v_cvt_f32_f16_e32 v75, v2
	v_lshrrev_b32_e32 v2, 16, v13
	s_ashr_i32 s8, s2, 31
	s_add_u32 s3, s18, s3
	s_addc_u32 s9, s19, s9
	s_waitcnt lgkmcnt(0)
	s_mul_i32 s5, s33, s5
	s_mul_hi_u32 s18, s33, s4
	v_mul_lo_u32 v96, v94, s40
	s_add_u32 s26, s3, s2
	s_addc_u32 s8, s9, s8
	s_add_i32 s5, s18, s5
	s_mul_i32 s9, s6, s4
	s_mul_i32 s17, s17, s11
	v_cvt_f32_f16_e32 v30, v4
	v_cvt_f32_f16_e32 v77, v1
	v_lshrrev_b32_e32 v1, 16, v80
	v_cvt_f32_f16_e32 v79, v2
	v_lshrrev_b32_e32 v2, 16, v82
	v_xor_b32_e32 v4, 16, v91
	s_mul_i32 s4, s33, s4
	s_add_i32 s5, s5, s9
	s_ashr_i32 s9, s17, 31
	s_clause 0x1
	s_load_b64 s[2:3], s[0:1], 0xc8
	s_load_b32 s41, s[0:1], 0xd4
	s_add_u32 s4, s20, s4
	s_addc_u32 s5, s21, s5
	s_mul_i32 s13, s13, s43
	s_add_u32 s4, s4, s17
	v_cvt_f32_f16_e32 v81, v1
	v_cvt_f32_f16_e32 v83, v2
	v_lshrrev_b32_e32 v2, 16, v86
	v_cmp_gt_i32_e32 vcc_lo, 32, v4
	v_add_nc_u32_e32 v1, s36, v94
	s_addc_u32 s5, s5, s9
	s_sub_i32 s7, s7, s13
	v_cvt_f32_f16_e32 v76, v12
	v_cndmask_b32_e32 v4, v91, v4, vcc_lo
	v_add_nc_u32_e32 v12, s40, v96
	s_sub_i32 s9, s7, s43
	s_cmp_ge_u32 s7, s43
	v_cvt_f32_f16_e32 v87, v2
	v_ashrrev_i32_e32 v2, 31, v1
	s_cselect_b32 s7, s9, s7
	v_cvt_f32_f16_e32 v64, v14
	v_add_nc_u32_e32 v14, s40, v12
	s_sub_i32 s9, s7, s43
	s_cmp_ge_u32 s7, s43
	v_lshlrev_b64 v[1:2], 1, v[1:2]
	s_cselect_b32 s7, s9, s7
	v_add_nc_u32_e32 v92, s40, v14
	s_xor_b32 s7, s7, s6
	v_cvt_f32_f16_e32 v38, v23
	s_sub_i32 s6, s7, s6
	s_clause 0x3
	scratch_store_b32 off, v94, off offset:128
	scratch_store_b32 off, v96, off offset:132
	;; [unrolled: 1-line block ×3, first 2 shown]
	scratch_store_b64 off, v[1:2], off offset:232
	v_add_nc_u32_e32 v23, s40, v92
	v_ashrrev_i32_e32 v1, 31, v96
	s_waitcnt lgkmcnt(0)
	s_mul_i32 s3, s6, s3
	s_mul_hi_u32 s7, s6, s2
	s_ashr_i32 s9, s6, 31
	s_add_i32 s3, s7, s3
	s_mul_i32 s9, s9, s2
	s_mul_i32 s6, s6, s2
	s_add_i32 s3, s3, s9
	v_add_nc_u32_e32 v103, s40, v23
	s_clause 0x1
	scratch_store_b32 off, v1, off offset:176
	scratch_store_b32 off, v12, off offset:136
	v_ashrrev_i32_e32 v1, 31, v12
	s_add_u32 s2, s22, s6
	s_mul_i32 s6, s15, s39
	v_lshrrev_b32_e32 v90, 3, v78
	s_addc_u32 s3, s23, s3
	s_ashr_i32 s7, s6, 31
	s_mov_b32 s17, s27
	s_add_u32 s6, s2, s6
	s_addc_u32 s7, s3, s7
	s_lshl_b64 s[2:3], s[16:17], 1
	v_add_nc_u32_e32 v106, s40, v103
	s_clause 0x1
	scratch_store_b32 off, v1, off offset:180
	scratch_store_b32 off, v14, off offset:144
	v_ashrrev_i32_e32 v1, 31, v14
	s_add_u32 s18, s6, s2
	s_mul_i32 s2, s16, s10
	v_dual_mov_b32 v10, 0 :: v_dual_and_b32 v89, 7, v78
	v_cvt_f32_f16_e32 v48, v5
	v_or_b32_e32 v5, v0, v90
	v_add_nc_u32_e32 v0, v0, v90
	s_addc_u32 s19, s7, s3
	s_add_u32 s11, s4, s2
	s_mul_i32 s2, s16, s40
	s_addc_u32 s13, s5, 0
	scratch_store_b32 off, v1, off offset:184 ; 4-byte Folded Spill
	v_add_nc_u32_e32 v1, s40, v106
	s_add_u32 s17, s26, s2
	s_addc_u32 s20, s8, 0
	v_cmp_eq_u32_e64 s2, 0, v89
	v_cvt_f32_f16_e32 v78, v13
	v_cmp_eq_u32_e64 s3, 1, v89
	v_cmp_eq_u32_e64 s4, 2, v89
	;; [unrolled: 1-line block ×7, first 2 shown]
	v_lshlrev_b32_e32 v89, 2, v3
	v_mul_lo_u32 v13, v5, s10
	v_add_nc_u32_e32 v3, 4, v0
	scratch_store_b32 off, v1, off offset:188 ; 4-byte Folded Spill
	v_ashrrev_i32_e32 v1, 31, v1
	v_cvt_f32_f16_e32 v66, v15
	v_lshlrev_b32_e32 v90, 2, v4
	v_add_nc_u32_e32 v4, 8, v0
	v_mul_lo_u32 v15, v3, s10
	s_clause 0x1
	scratch_store_b32 off, v1, off offset:192
	scratch_store_b32 off, v13, off offset:140
	v_ashrrev_i32_e32 v1, 31, v13
	v_cvt_f32_f16_e32 v50, v6
	v_cvt_f32_f16_e32 v68, v16
	v_add_nc_u32_e32 v6, 12, v0
	v_mul_lo_u32 v16, v4, s10
	s_clause 0x1
	scratch_store_b32 off, v1, off offset:196
	scratch_store_b32 off, v15, off offset:148
	v_ashrrev_i32_e32 v1, 31, v15
	v_lshlrev_b32_e32 v91, 1, v5
	v_or_b32_e32 v5, 16, v5
	v_mul_lo_u32 v6, v6, s10
	s_clause 0x1
	scratch_store_b32 off, v1, off offset:200
	scratch_store_b32 off, v16, off offset:152
	v_ashrrev_i32_e32 v1, 31, v16
	v_cvt_f32_f16_e32 v70, v17
	v_cvt_f32_f16_e32 v74, v11
	v_add_nc_u32_e32 v11, 20, v0
	v_mul_lo_u32 v17, v5, s10
	s_clause 0x1
	scratch_store_b32 off, v1, off offset:204
	scratch_store_b32 off, v6, off offset:156
	v_ashrrev_i32_e32 v1, 31, v6
	v_cvt_f32_f16_e32 v60, v22
	v_mul_lo_u32 v22, v11, s10
	v_add_nc_u32_e32 v5, 24, v0
	s_clause 0x1
	scratch_store_b32 off, v1, off offset:208
	scratch_store_b32 off, v17, off offset:160
	v_ashrrev_i32_e32 v1, 31, v17
	v_lshl_add_u32 v93, v0, 1, 0x100
	v_add_nc_u32_e32 v0, 28, v0
	v_mul_lo_u32 v5, v5, s10
	s_clause 0x1
	scratch_store_b32 off, v1, off offset:212
	scratch_store_b32 off, v22, off offset:164
	v_ashrrev_i32_e32 v1, 31, v22
	v_mul_lo_u32 v0, v0, s10
	s_cmp_lg_u64 s[22:23], 0
	s_clause 0x1
	scratch_store_b32 off, v1, off offset:216
	scratch_store_b32 off, v5, off offset:168
	v_ashrrev_i32_e32 v1, 31, v5
	s_cselect_b32 s23, -1, 0
	s_ashr_i32 s22, s36, 31
	v_add_co_u32 v3, s36, v94, s36
	s_delay_alu instid0(VALU_DEP_1)
	v_add_co_ci_u32_e64 v4, null, 0, s22, s36
	s_clause 0x1
	scratch_store_b32 off, v1, off offset:220
	scratch_store_b32 off, v0, off offset:172
	v_ashrrev_i32_e32 v0, 31, v0
	v_cvt_f32_f16_e32 v56, v19
	v_cvt_f32_f16_e32 v58, v20
	v_lshlrev_b64 v[19:20], 1, v[3:4]
	v_cvt_f32_f16_e32 v25, v25
	v_cvt_f32_f16_e32 v27, v27
	v_cvt_f32_f16_e32 v32, v32
	v_cvt_f32_f16_e32 v34, v34
	v_cvt_f32_f16_e32 v36, v36
	v_cvt_f32_f16_e32 v42, v42
	v_cvt_f32_f16_e32 v44, v44
	v_cvt_f32_f16_e32 v46, v46
	v_cvt_f32_f16_e32 v52, v52
	v_cvt_f32_f16_e32 v54, v54
	v_cvt_f32_f16_e32 v62, v62
	v_cvt_f32_f16_e32 v72, v72
	v_cvt_f32_f16_e32 v80, v80
	v_cvt_f32_f16_e32 v82, v82
	v_cvt_f32_f16_e32 v84, v84
	v_cvt_f32_f16_e32 v86, v86
	v_lshlrev_b32_e32 v105, 1, v95
	v_mov_b32_e32 v11, 0
	s_clause 0x1
	scratch_store_b32 off, v0, off offset:224
	scratch_store_b32 off, v88, off offset:260
	v_mov_b32_e32 v4, 0xfeffffff
	v_lshlrev_b32_e32 v0, 2, v88
	s_lshl_b32 s26, s41, 7
	s_and_b32 s22, s23, s42
	s_mul_i32 s21, s26, s40
	s_mul_i32 s10, s26, s10
	s_and_b32 s23, s23, s45
	scratch_store_b32 off, v0, off offset:228 ; 4-byte Folded Spill
                                        ; implicit-def: $vgpr125
                                        ; implicit-def: $vgpr126
.LBB28_22:                              ; =>This Inner Loop Header: Depth=1
	s_clause 0x1
	scratch_load_b32 v0, off, off offset:228
	scratch_load_b32 v1, off, off offset:176
	s_waitcnt vmcnt(1)
	v_add_co_u32 v136, s36, s17, v0
	scratch_load_b32 v0, off, off offset:132 ; 4-byte Folded Reload
	v_add_co_ci_u32_e64 v137, null, s20, 0, s36
	s_waitcnt vmcnt(0)
	v_add_co_u32 v0, vcc_lo, v136, v0
	s_delay_alu instid0(VALU_DEP_2)
	v_add_co_ci_u32_e32 v1, vcc_lo, v137, v1, vcc_lo
	s_and_b32 vcc_lo, exec_lo, s22
	s_clause 0x3
	global_load_b128 v[130:133], v[0:1], off
	global_load_b128 v[141:144], v[0:1], off offset:128
	global_load_b128 v[149:152], v[0:1], off offset:256
	;; [unrolled: 1-line block ×3, first 2 shown]
	s_waitcnt vmcnt(3)
	v_and_b32_e32 v12, 0xffff0000, v130
	v_lshlrev_b32_e32 v13, 16, v130
	v_lshlrev_b32_e32 v128, 16, v131
	;; [unrolled: 1-line block ×3, first 2 shown]
	s_waitcnt vmcnt(2)
	v_lshlrev_b32_e32 v134, 16, v141
	v_and_b32_e32 v138, 0xffff0000, v141
	v_fma_f32 v0, v13, v24, 0
	v_and_b32_e32 v140, 0xffff0000, v142
	s_waitcnt vmcnt(1)
	v_and_b32_e32 v146, 0xffff0000, v149
	v_and_b32_e32 v148, 0xffff0000, v150
	s_waitcnt vmcnt(0)
	v_and_b32_e32 v154, 0xffff0000, v157
	v_dual_fmac_f32 v0, v12, v25 :: v_dual_and_b32 v129, 0xffff0000, v131
	v_and_b32_e32 v156, 0xffff0000, v158
	v_and_b32_e32 v131, 0xffff0000, v132
	v_lshlrev_b32_e32 v132, 16, v133
	s_delay_alu instid0(VALU_DEP_4) | instskip(SKIP_3) | instid1(VALU_DEP_4)
	v_dual_fmac_f32 v0, v128, v26 :: v_dual_and_b32 v133, 0xffff0000, v133
	v_lshlrev_b32_e32 v139, 16, v142
	v_and_b32_e32 v142, 0xffff0000, v143
	v_lshlrev_b32_e32 v141, 16, v143
	v_dual_fmac_f32 v0, v129, v27 :: v_dual_lshlrev_b32 v143, 16, v144
	v_and_b32_e32 v144, 0xffff0000, v144
	v_lshlrev_b32_e32 v145, 16, v149
	s_delay_alu instid0(VALU_DEP_3)
	v_dual_fmac_f32 v0, v130, v28 :: v_dual_lshlrev_b32 v147, 16, v150
	v_and_b32_e32 v150, 0xffff0000, v151
	v_lshlrev_b32_e32 v149, 16, v151
	v_lshlrev_b32_e32 v151, 16, v152
	v_and_b32_e32 v152, 0xffff0000, v152
	v_fmac_f32_e32 v0, v131, v29
	v_lshlrev_b32_e32 v153, 16, v157
	v_lshlrev_b32_e32 v155, 16, v158
	v_and_b32_e32 v158, 0xffff0000, v159
	s_delay_alu instid0(VALU_DEP_4) | instskip(SKIP_2) | instid1(VALU_DEP_3)
	v_dual_fmac_f32 v0, v132, v30 :: v_dual_lshlrev_b32 v157, 16, v159
	v_lshlrev_b32_e32 v159, 16, v160
	v_and_b32_e32 v160, 0xffff0000, v160
	v_fmac_f32_e32 v0, v133, v31
	s_delay_alu instid0(VALU_DEP_1) | instskip(NEXT) | instid1(VALU_DEP_1)
	v_fmac_f32_e32 v0, v134, v32
	v_fmac_f32_e32 v0, v138, v33
	s_delay_alu instid0(VALU_DEP_1) | instskip(NEXT) | instid1(VALU_DEP_1)
	v_fmac_f32_e32 v0, v139, v34
	;; [unrolled: 3-line block ×12, first 2 shown]
	v_fmac_f32_e32 v0, v55, v160
	ds_bpermute_b32 v1, v7, v0
	s_waitcnt lgkmcnt(0)
	v_add_f32_e32 v0, v0, v1
	ds_bpermute_b32 v1, v8, v0
	s_waitcnt lgkmcnt(0)
	v_add_f32_e32 v0, v0, v1
	;; [unrolled: 3-line block ×3, first 2 shown]
	scratch_load_b32 v0, off, off offset:128 ; 4-byte Folded Reload
	s_waitcnt vmcnt(0)
	v_lshlrev_b32_e32 v135, 1, v0
	s_cbranch_vccz .LBB28_24
; %bb.23:                               ;   in Loop: Header=BB28_22 Depth=1
	global_load_u16 v0, v135, s[18:19]
	s_waitcnt vmcnt(0)
	v_fma_mix_f32 v5, v21, v0, v5 op_sel_hi:[0,1,0]
.LBB28_24:                              ;   in Loop: Header=BB28_22 Depth=1
	v_fma_f32 v0, v13, v56, 0
	s_and_not1_b32 vcc_lo, exec_lo, s23
	s_delay_alu instid0(VALU_DEP_1) | instskip(NEXT) | instid1(VALU_DEP_1)
	v_fmac_f32_e32 v0, v12, v57
	v_fmac_f32_e32 v0, v128, v58
	s_delay_alu instid0(VALU_DEP_1) | instskip(NEXT) | instid1(VALU_DEP_1)
	v_fmac_f32_e32 v0, v129, v59
	v_fmac_f32_e32 v0, v130, v60
	;; [unrolled: 3-line block ×15, first 2 shown]
	s_delay_alu instid0(VALU_DEP_1)
	v_fmac_f32_e32 v0, v160, v87
	ds_bpermute_b32 v1, v7, v0
	s_waitcnt lgkmcnt(0)
	v_add_f32_e32 v0, v0, v1
	ds_bpermute_b32 v1, v8, v0
	s_waitcnt lgkmcnt(0)
	v_add_f32_e32 v0, v0, v1
	;; [unrolled: 3-line block ×3, first 2 shown]
	s_cbranch_vccnz .LBB28_26
; %bb.25:                               ;   in Loop: Header=BB28_22 Depth=1
	scratch_load_b64 v[0:1], off, off offset:232 ; 8-byte Folded Reload
	s_waitcnt vmcnt(0)
	v_add_co_u32 v0, vcc_lo, s18, v0
	v_add_co_ci_u32_e32 v1, vcc_lo, s19, v1, vcc_lo
	global_load_u16 v0, v[0:1], off
	s_waitcnt vmcnt(0)
	v_fma_mix_f32 v12, v21, v0, v12 op_sel_hi:[0,1,0]
.LBB28_26:                              ;   in Loop: Header=BB28_22 Depth=1
	s_clause 0x1
	scratch_load_b32 v0, off, off offset:136
	scratch_load_b32 v1, off, off offset:180
	s_waitcnt vmcnt(1)
	v_add_co_u32 v0, vcc_lo, v136, v0
	s_waitcnt vmcnt(0)
	v_add_co_ci_u32_e32 v1, vcc_lo, v137, v1, vcc_lo
	s_and_not1_b32 vcc_lo, exec_lo, s22
	s_clause 0x3
	global_load_b128 v[138:141], v[0:1], off
	global_load_b128 v[143:146], v[0:1], off offset:128
	global_load_b128 v[151:154], v[0:1], off offset:256
	global_load_b128 v[159:162], v[0:1], off offset:384
	s_waitcnt vmcnt(3)
	v_and_b32_e32 v128, 0xffff0000, v138
	v_lshlrev_b32_e32 v129, 16, v138
	v_lshlrev_b32_e32 v130, 16, v139
	v_lshlrev_b32_e32 v132, 16, v140
	v_lshlrev_b32_e32 v134, 16, v141
	v_and_b32_e32 v138, 0xffff0000, v141
	v_fma_f32 v0, v129, v24, 0
	s_waitcnt vmcnt(2)
	v_and_b32_e32 v142, 0xffff0000, v144
	s_waitcnt vmcnt(1)
	v_and_b32_e32 v148, 0xffff0000, v151
	v_and_b32_e32 v150, 0xffff0000, v152
	s_waitcnt vmcnt(0)
	v_and_b32_e32 v156, 0xffff0000, v159
	v_dual_fmac_f32 v0, v128, v25 :: v_dual_and_b32 v131, 0xffff0000, v139
	v_and_b32_e32 v158, 0xffff0000, v160
	v_and_b32_e32 v133, 0xffff0000, v140
	;; [unrolled: 1-line block ×3, first 2 shown]
	s_delay_alu instid0(VALU_DEP_4) | instskip(SKIP_2) | instid1(VALU_DEP_3)
	v_dual_fmac_f32 v0, v130, v26 :: v_dual_lshlrev_b32 v139, 16, v143
	v_lshlrev_b32_e32 v141, 16, v144
	v_and_b32_e32 v144, 0xffff0000, v145
	v_dual_fmac_f32 v0, v131, v27 :: v_dual_lshlrev_b32 v143, 16, v145
	v_lshlrev_b32_e32 v145, 16, v146
	v_and_b32_e32 v146, 0xffff0000, v146
	v_lshlrev_b32_e32 v147, 16, v151
	v_lshlrev_b32_e32 v149, 16, v152
	v_fmac_f32_e32 v0, v132, v28
	v_and_b32_e32 v152, 0xffff0000, v153
	v_lshlrev_b32_e32 v151, 16, v153
	v_lshlrev_b32_e32 v153, 16, v154
	v_and_b32_e32 v154, 0xffff0000, v154
	v_dual_fmac_f32 v0, v133, v29 :: v_dual_lshlrev_b32 v155, 16, v159
	v_lshlrev_b32_e32 v157, 16, v160
	v_and_b32_e32 v160, 0xffff0000, v161
	s_delay_alu instid0(VALU_DEP_3) | instskip(SKIP_2) | instid1(VALU_DEP_3)
	v_dual_fmac_f32 v0, v134, v30 :: v_dual_lshlrev_b32 v159, 16, v161
	v_lshlrev_b32_e32 v161, 16, v162
	v_and_b32_e32 v162, 0xffff0000, v162
	v_fmac_f32_e32 v0, v138, v31
	s_delay_alu instid0(VALU_DEP_1) | instskip(NEXT) | instid1(VALU_DEP_1)
	v_fmac_f32_e32 v0, v139, v32
	v_fmac_f32_e32 v0, v140, v33
	s_delay_alu instid0(VALU_DEP_1) | instskip(NEXT) | instid1(VALU_DEP_1)
	v_fmac_f32_e32 v0, v141, v34
	;; [unrolled: 3-line block ×12, first 2 shown]
	v_fmac_f32_e32 v0, v55, v162
	ds_bpermute_b32 v1, v7, v0
	s_waitcnt lgkmcnt(0)
	v_add_f32_e32 v0, v0, v1
	ds_bpermute_b32 v1, v8, v0
	s_waitcnt lgkmcnt(0)
	v_add_f32_e32 v0, v0, v1
	;; [unrolled: 3-line block ×3, first 2 shown]
	s_cbranch_vccnz .LBB28_28
; %bb.27:                               ;   in Loop: Header=BB28_22 Depth=1
	global_load_u16 v0, v135, s[18:19] offset:2
	s_waitcnt vmcnt(0)
	v_fma_mix_f32 v13, v21, v0, v13 op_sel_hi:[0,1,0]
.LBB28_28:                              ;   in Loop: Header=BB28_22 Depth=1
	v_fma_f32 v0, v129, v56, 0
	s_and_not1_b32 vcc_lo, exec_lo, s23
	s_delay_alu instid0(VALU_DEP_1) | instskip(NEXT) | instid1(VALU_DEP_1)
	v_fmac_f32_e32 v0, v128, v57
	v_fmac_f32_e32 v0, v130, v58
	s_delay_alu instid0(VALU_DEP_1) | instskip(NEXT) | instid1(VALU_DEP_1)
	v_fmac_f32_e32 v0, v131, v59
	v_fmac_f32_e32 v0, v132, v60
	;; [unrolled: 3-line block ×15, first 2 shown]
	s_delay_alu instid0(VALU_DEP_1)
	v_fmac_f32_e32 v0, v162, v87
	ds_bpermute_b32 v1, v7, v0
	s_waitcnt lgkmcnt(0)
	v_add_f32_e32 v0, v0, v1
	ds_bpermute_b32 v1, v8, v0
	s_waitcnt lgkmcnt(0)
	v_add_f32_e32 v0, v0, v1
	;; [unrolled: 3-line block ×3, first 2 shown]
	s_cbranch_vccnz .LBB28_30
; %bb.29:                               ;   in Loop: Header=BB28_22 Depth=1
	v_add_co_u32 v0, vcc_lo, s18, v19
	v_add_co_ci_u32_e32 v1, vcc_lo, s19, v20, vcc_lo
	global_load_u16 v0, v[0:1], off offset:2
	s_waitcnt vmcnt(0)
	v_fma_mix_f32 v128, v21, v0, v128 op_sel_hi:[0,1,0]
.LBB28_30:                              ;   in Loop: Header=BB28_22 Depth=1
	s_clause 0x1
	scratch_load_b32 v0, off, off offset:144
	scratch_load_b32 v1, off, off offset:184
	s_waitcnt vmcnt(1)
	v_add_co_u32 v0, vcc_lo, v136, v0
	s_waitcnt vmcnt(0)
	v_add_co_ci_u32_e32 v1, vcc_lo, v137, v1, vcc_lo
	s_and_not1_b32 vcc_lo, exec_lo, s22
	s_clause 0x3
	global_load_b128 v[138:141], v[0:1], off
	global_load_b128 v[145:148], v[0:1], off offset:128
	global_load_b128 v[153:156], v[0:1], off offset:256
	;; [unrolled: 1-line block ×3, first 2 shown]
	s_waitcnt vmcnt(3)
	v_and_b32_e32 v130, 0xffff0000, v138
	v_lshlrev_b32_e32 v131, 16, v138
	v_lshlrev_b32_e32 v132, 16, v139
	;; [unrolled: 1-line block ×3, first 2 shown]
	v_and_b32_e32 v138, 0xffff0000, v140
	v_and_b32_e32 v140, 0xffff0000, v141
	v_fma_f32 v0, v131, v24, 0
	s_waitcnt vmcnt(2)
	v_and_b32_e32 v142, 0xffff0000, v145
	v_and_b32_e32 v144, 0xffff0000, v146
	s_waitcnt vmcnt(1)
	v_and_b32_e32 v150, 0xffff0000, v153
	v_and_b32_e32 v152, 0xffff0000, v154
	v_dual_fmac_f32 v0, v130, v25 :: v_dual_and_b32 v133, 0xffff0000, v139
	s_waitcnt vmcnt(0)
	v_and_b32_e32 v158, 0xffff0000, v161
	v_and_b32_e32 v160, 0xffff0000, v162
	s_delay_alu instid0(VALU_DEP_3)
	v_dual_fmac_f32 v0, v132, v26 :: v_dual_lshlrev_b32 v139, 16, v141
	v_lshlrev_b32_e32 v141, 16, v145
	v_lshlrev_b32_e32 v143, 16, v146
	v_and_b32_e32 v146, 0xffff0000, v147
	v_lshlrev_b32_e32 v145, 16, v147
	v_dual_fmac_f32 v0, v133, v27 :: v_dual_lshlrev_b32 v147, 16, v148
	v_and_b32_e32 v148, 0xffff0000, v148
	v_lshlrev_b32_e32 v149, 16, v153
	s_delay_alu instid0(VALU_DEP_3)
	v_dual_fmac_f32 v0, v134, v28 :: v_dual_lshlrev_b32 v151, 16, v154
	v_and_b32_e32 v154, 0xffff0000, v155
	v_lshlrev_b32_e32 v153, 16, v155
	v_lshlrev_b32_e32 v155, 16, v156
	v_and_b32_e32 v156, 0xffff0000, v156
	v_fmac_f32_e32 v0, v138, v29
	v_lshlrev_b32_e32 v157, 16, v161
	v_lshlrev_b32_e32 v159, 16, v162
	v_and_b32_e32 v162, 0xffff0000, v163
	s_delay_alu instid0(VALU_DEP_4) | instskip(SKIP_2) | instid1(VALU_DEP_3)
	v_dual_fmac_f32 v0, v139, v30 :: v_dual_lshlrev_b32 v161, 16, v163
	v_lshlrev_b32_e32 v163, 16, v164
	v_and_b32_e32 v164, 0xffff0000, v164
	v_fmac_f32_e32 v0, v140, v31
	s_delay_alu instid0(VALU_DEP_1) | instskip(NEXT) | instid1(VALU_DEP_1)
	v_fmac_f32_e32 v0, v141, v32
	v_fmac_f32_e32 v0, v142, v33
	s_delay_alu instid0(VALU_DEP_1) | instskip(NEXT) | instid1(VALU_DEP_1)
	v_fmac_f32_e32 v0, v143, v34
	;; [unrolled: 3-line block ×12, first 2 shown]
	v_fmac_f32_e32 v0, v55, v164
	ds_bpermute_b32 v1, v7, v0
	s_waitcnt lgkmcnt(0)
	v_add_f32_e32 v0, v0, v1
	ds_bpermute_b32 v1, v8, v0
	s_waitcnt lgkmcnt(0)
	v_add_f32_e32 v0, v0, v1
	;; [unrolled: 3-line block ×3, first 2 shown]
	s_cbranch_vccnz .LBB28_32
; %bb.31:                               ;   in Loop: Header=BB28_22 Depth=1
	global_load_u16 v0, v135, s[18:19] offset:4
	s_waitcnt vmcnt(0)
	v_fma_mix_f32 v129, v21, v0, v129 op_sel_hi:[0,1,0]
.LBB28_32:                              ;   in Loop: Header=BB28_22 Depth=1
	v_fma_f32 v0, v131, v56, 0
	s_and_not1_b32 vcc_lo, exec_lo, s23
	s_delay_alu instid0(VALU_DEP_1) | instskip(NEXT) | instid1(VALU_DEP_1)
	v_fmac_f32_e32 v0, v130, v57
	v_fmac_f32_e32 v0, v132, v58
	s_delay_alu instid0(VALU_DEP_1) | instskip(NEXT) | instid1(VALU_DEP_1)
	v_fmac_f32_e32 v0, v133, v59
	v_fmac_f32_e32 v0, v134, v60
	;; [unrolled: 3-line block ×15, first 2 shown]
	s_delay_alu instid0(VALU_DEP_1)
	v_fmac_f32_e32 v0, v164, v87
	ds_bpermute_b32 v1, v7, v0
	s_waitcnt lgkmcnt(0)
	v_add_f32_e32 v0, v0, v1
	ds_bpermute_b32 v1, v8, v0
	s_waitcnt lgkmcnt(0)
	v_add_f32_e32 v0, v0, v1
	;; [unrolled: 3-line block ×3, first 2 shown]
	s_cbranch_vccnz .LBB28_34
; %bb.33:                               ;   in Loop: Header=BB28_22 Depth=1
	v_add_co_u32 v0, vcc_lo, s18, v19
	v_add_co_ci_u32_e32 v1, vcc_lo, s19, v20, vcc_lo
	global_load_u16 v0, v[0:1], off offset:4
	s_waitcnt vmcnt(0)
	v_fma_mix_f32 v130, v21, v0, v130 op_sel_hi:[0,1,0]
.LBB28_34:                              ;   in Loop: Header=BB28_22 Depth=1
	v_ashrrev_i32_e32 v1, 31, v92
	v_add_co_u32 v0, vcc_lo, v136, v92
	s_delay_alu instid0(VALU_DEP_2)
	v_add_co_ci_u32_e32 v1, vcc_lo, v137, v1, vcc_lo
	s_and_not1_b32 vcc_lo, exec_lo, s22
	s_clause 0x3
	global_load_b128 v[139:142], v[0:1], off
	global_load_b128 v[147:150], v[0:1], off offset:128
	global_load_b128 v[155:158], v[0:1], off offset:256
	;; [unrolled: 1-line block ×3, first 2 shown]
	s_waitcnt vmcnt(3)
	v_and_b32_e32 v132, 0xffff0000, v139
	v_lshlrev_b32_e32 v133, 16, v139
	v_lshlrev_b32_e32 v134, 16, v140
	v_and_b32_e32 v138, 0xffff0000, v140
	v_and_b32_e32 v140, 0xffff0000, v141
	s_waitcnt vmcnt(2)
	v_and_b32_e32 v144, 0xffff0000, v147
	v_fma_f32 v0, v133, v24, 0
	v_and_b32_e32 v146, 0xffff0000, v148
	s_waitcnt vmcnt(1)
	v_and_b32_e32 v152, 0xffff0000, v155
	v_and_b32_e32 v154, 0xffff0000, v156
	s_waitcnt vmcnt(0)
	v_and_b32_e32 v160, 0xffff0000, v163
	v_fmac_f32_e32 v0, v132, v25
	v_and_b32_e32 v162, 0xffff0000, v164
	v_lshlrev_b32_e32 v139, 16, v141
	v_lshlrev_b32_e32 v141, 16, v142
	v_and_b32_e32 v142, 0xffff0000, v142
	v_dual_fmac_f32 v0, v134, v26 :: v_dual_lshlrev_b32 v143, 16, v147
	v_lshlrev_b32_e32 v145, 16, v148
	v_and_b32_e32 v148, 0xffff0000, v149
	s_delay_alu instid0(VALU_DEP_3)
	v_dual_fmac_f32 v0, v138, v27 :: v_dual_lshlrev_b32 v147, 16, v149
	v_lshlrev_b32_e32 v149, 16, v150
	v_and_b32_e32 v150, 0xffff0000, v150
	v_lshlrev_b32_e32 v151, 16, v155
	v_lshlrev_b32_e32 v153, 16, v156
	v_fmac_f32_e32 v0, v139, v28
	v_and_b32_e32 v156, 0xffff0000, v157
	v_lshlrev_b32_e32 v155, 16, v157
	v_lshlrev_b32_e32 v157, 16, v158
	v_and_b32_e32 v158, 0xffff0000, v158
	v_dual_fmac_f32 v0, v140, v29 :: v_dual_lshlrev_b32 v159, 16, v163
	v_lshlrev_b32_e32 v161, 16, v164
	v_and_b32_e32 v164, 0xffff0000, v165
	s_delay_alu instid0(VALU_DEP_3) | instskip(SKIP_2) | instid1(VALU_DEP_3)
	v_dual_fmac_f32 v0, v141, v30 :: v_dual_lshlrev_b32 v163, 16, v165
	v_lshlrev_b32_e32 v165, 16, v166
	v_and_b32_e32 v166, 0xffff0000, v166
	v_fmac_f32_e32 v0, v142, v31
	s_delay_alu instid0(VALU_DEP_1) | instskip(NEXT) | instid1(VALU_DEP_1)
	v_fmac_f32_e32 v0, v143, v32
	v_fmac_f32_e32 v0, v144, v33
	s_delay_alu instid0(VALU_DEP_1) | instskip(NEXT) | instid1(VALU_DEP_1)
	v_fmac_f32_e32 v0, v145, v34
	;; [unrolled: 3-line block ×12, first 2 shown]
	v_fmac_f32_e32 v0, v55, v166
	ds_bpermute_b32 v1, v7, v0
	s_waitcnt lgkmcnt(0)
	v_add_f32_e32 v0, v0, v1
	ds_bpermute_b32 v1, v8, v0
	s_waitcnt lgkmcnt(0)
	v_add_f32_e32 v0, v0, v1
	;; [unrolled: 3-line block ×3, first 2 shown]
	s_cbranch_vccnz .LBB28_36
; %bb.35:                               ;   in Loop: Header=BB28_22 Depth=1
	global_load_u16 v0, v135, s[18:19] offset:6
	s_waitcnt vmcnt(0)
	v_fma_mix_f32 v131, v21, v0, v131 op_sel_hi:[0,1,0]
.LBB28_36:                              ;   in Loop: Header=BB28_22 Depth=1
	v_fma_f32 v0, v133, v56, 0
	s_and_not1_b32 vcc_lo, exec_lo, s23
	s_delay_alu instid0(VALU_DEP_1) | instskip(NEXT) | instid1(VALU_DEP_1)
	v_fmac_f32_e32 v0, v132, v57
	v_fmac_f32_e32 v0, v134, v58
	s_delay_alu instid0(VALU_DEP_1) | instskip(NEXT) | instid1(VALU_DEP_1)
	v_fmac_f32_e32 v0, v138, v59
	v_fmac_f32_e32 v0, v139, v60
	s_delay_alu instid0(VALU_DEP_1) | instskip(NEXT) | instid1(VALU_DEP_1)
	v_fmac_f32_e32 v0, v140, v61
	v_fmac_f32_e32 v0, v141, v62
	s_delay_alu instid0(VALU_DEP_1) | instskip(NEXT) | instid1(VALU_DEP_1)
	v_fmac_f32_e32 v0, v142, v63
	v_fmac_f32_e32 v0, v143, v64
	s_delay_alu instid0(VALU_DEP_1) | instskip(NEXT) | instid1(VALU_DEP_1)
	v_fmac_f32_e32 v0, v144, v65
	v_fmac_f32_e32 v0, v145, v66
	s_delay_alu instid0(VALU_DEP_1) | instskip(NEXT) | instid1(VALU_DEP_1)
	v_fmac_f32_e32 v0, v146, v67
	v_fmac_f32_e32 v0, v147, v68
	s_delay_alu instid0(VALU_DEP_1) | instskip(NEXT) | instid1(VALU_DEP_1)
	v_fmac_f32_e32 v0, v148, v69
	v_fmac_f32_e32 v0, v149, v70
	s_delay_alu instid0(VALU_DEP_1) | instskip(NEXT) | instid1(VALU_DEP_1)
	v_fmac_f32_e32 v0, v150, v71
	v_fmac_f32_e32 v0, v151, v72
	s_delay_alu instid0(VALU_DEP_1) | instskip(NEXT) | instid1(VALU_DEP_1)
	v_fmac_f32_e32 v0, v152, v73
	v_fmac_f32_e32 v0, v153, v74
	s_delay_alu instid0(VALU_DEP_1) | instskip(NEXT) | instid1(VALU_DEP_1)
	v_fmac_f32_e32 v0, v154, v75
	v_fmac_f32_e32 v0, v155, v76
	s_delay_alu instid0(VALU_DEP_1) | instskip(NEXT) | instid1(VALU_DEP_1)
	v_fmac_f32_e32 v0, v156, v77
	v_fmac_f32_e32 v0, v157, v78
	s_delay_alu instid0(VALU_DEP_1) | instskip(NEXT) | instid1(VALU_DEP_1)
	v_fmac_f32_e32 v0, v158, v79
	v_fmac_f32_e32 v0, v159, v80
	s_delay_alu instid0(VALU_DEP_1) | instskip(NEXT) | instid1(VALU_DEP_1)
	v_fmac_f32_e32 v0, v160, v81
	v_fmac_f32_e32 v0, v161, v82
	s_delay_alu instid0(VALU_DEP_1) | instskip(NEXT) | instid1(VALU_DEP_1)
	v_fmac_f32_e32 v0, v162, v83
	v_fmac_f32_e32 v0, v163, v84
	s_delay_alu instid0(VALU_DEP_1) | instskip(NEXT) | instid1(VALU_DEP_1)
	v_fmac_f32_e32 v0, v164, v85
	v_fmac_f32_e32 v0, v165, v86
	s_delay_alu instid0(VALU_DEP_1)
	v_fmac_f32_e32 v0, v166, v87
	ds_bpermute_b32 v1, v7, v0
	s_waitcnt lgkmcnt(0)
	v_add_f32_e32 v0, v0, v1
	ds_bpermute_b32 v1, v8, v0
	s_waitcnt lgkmcnt(0)
	v_add_f32_e32 v0, v0, v1
	ds_bpermute_b32 v1, v9, v0
	s_waitcnt lgkmcnt(0)
	v_add_f32_e32 v132, v0, v1
	s_cbranch_vccnz .LBB28_38
; %bb.37:                               ;   in Loop: Header=BB28_22 Depth=1
	v_add_co_u32 v0, vcc_lo, s18, v19
	v_add_co_ci_u32_e32 v1, vcc_lo, s19, v20, vcc_lo
	global_load_u16 v0, v[0:1], off offset:6
	s_waitcnt vmcnt(0)
	v_fma_mix_f32 v132, v21, v0, v132 op_sel_hi:[0,1,0]
.LBB28_38:                              ;   in Loop: Header=BB28_22 Depth=1
	v_ashrrev_i32_e32 v1, 31, v23
	v_add_co_u32 v0, vcc_lo, v136, v23
	s_delay_alu instid0(VALU_DEP_2)
	v_add_co_ci_u32_e32 v1, vcc_lo, v137, v1, vcc_lo
	s_and_not1_b32 vcc_lo, exec_lo, s22
	s_clause 0x3
	global_load_b128 v[141:144], v[0:1], off
	global_load_b128 v[149:152], v[0:1], off offset:128
	global_load_b128 v[157:160], v[0:1], off offset:256
	;; [unrolled: 1-line block ×3, first 2 shown]
	s_waitcnt vmcnt(3)
	v_lshlrev_b32_e32 v138, 16, v141
	v_and_b32_e32 v134, 0xffff0000, v141
	v_and_b32_e32 v140, 0xffff0000, v142
	s_waitcnt vmcnt(2)
	v_and_b32_e32 v146, 0xffff0000, v149
	v_and_b32_e32 v148, 0xffff0000, v150
	v_fma_f32 v0, v138, v24, 0
	v_lshlrev_b32_e32 v139, 16, v142
	v_and_b32_e32 v142, 0xffff0000, v143
	s_waitcnt vmcnt(1)
	v_and_b32_e32 v154, 0xffff0000, v157
	v_and_b32_e32 v156, 0xffff0000, v158
	v_fmac_f32_e32 v0, v134, v25
	s_waitcnt vmcnt(0)
	v_and_b32_e32 v162, 0xffff0000, v165
	v_and_b32_e32 v164, 0xffff0000, v166
	v_lshlrev_b32_e32 v141, 16, v143
	v_dual_fmac_f32 v0, v139, v26 :: v_dual_lshlrev_b32 v143, 16, v144
	v_and_b32_e32 v144, 0xffff0000, v144
	v_lshlrev_b32_e32 v145, 16, v149
	v_lshlrev_b32_e32 v147, 16, v150
	v_and_b32_e32 v150, 0xffff0000, v151
	v_fmac_f32_e32 v0, v140, v27
	v_lshlrev_b32_e32 v149, 16, v151
	v_lshlrev_b32_e32 v151, 16, v152
	v_and_b32_e32 v152, 0xffff0000, v152
	s_delay_alu instid0(VALU_DEP_4) | instskip(SKIP_3) | instid1(VALU_DEP_4)
	v_dual_fmac_f32 v0, v141, v28 :: v_dual_lshlrev_b32 v153, 16, v157
	v_lshlrev_b32_e32 v155, 16, v158
	v_and_b32_e32 v158, 0xffff0000, v159
	v_lshlrev_b32_e32 v157, 16, v159
	v_dual_fmac_f32 v0, v142, v29 :: v_dual_lshlrev_b32 v159, 16, v160
	v_and_b32_e32 v160, 0xffff0000, v160
	v_lshlrev_b32_e32 v161, 16, v165
	v_lshlrev_b32_e32 v163, 16, v166
	v_and_b32_e32 v166, 0xffff0000, v167
	v_dual_fmac_f32 v0, v143, v30 :: v_dual_lshlrev_b32 v165, 16, v167
	v_lshlrev_b32_e32 v167, 16, v168
	v_and_b32_e32 v168, 0xffff0000, v168
	s_delay_alu instid0(VALU_DEP_3) | instskip(NEXT) | instid1(VALU_DEP_1)
	v_fmac_f32_e32 v0, v144, v31
	v_fmac_f32_e32 v0, v145, v32
	s_delay_alu instid0(VALU_DEP_1) | instskip(NEXT) | instid1(VALU_DEP_1)
	v_fmac_f32_e32 v0, v146, v33
	v_fmac_f32_e32 v0, v147, v34
	s_delay_alu instid0(VALU_DEP_1) | instskip(NEXT) | instid1(VALU_DEP_1)
	;; [unrolled: 3-line block ×11, first 2 shown]
	v_fmac_f32_e32 v0, v53, v166
	v_fmac_f32_e32 v0, v54, v167
	s_delay_alu instid0(VALU_DEP_1)
	v_fmac_f32_e32 v0, v55, v168
	ds_bpermute_b32 v1, v7, v0
	s_waitcnt lgkmcnt(0)
	v_add_f32_e32 v0, v0, v1
	ds_bpermute_b32 v1, v8, v0
	s_waitcnt lgkmcnt(0)
	v_add_f32_e32 v0, v0, v1
	;; [unrolled: 3-line block ×3, first 2 shown]
	s_cbranch_vccnz .LBB28_40
; %bb.39:                               ;   in Loop: Header=BB28_22 Depth=1
	global_load_u16 v0, v135, s[18:19] offset:8
	s_waitcnt vmcnt(0)
	v_fma_mix_f32 v133, v21, v0, v133 op_sel_hi:[0,1,0]
.LBB28_40:                              ;   in Loop: Header=BB28_22 Depth=1
	v_fma_f32 v0, v138, v56, 0
	s_and_not1_b32 vcc_lo, exec_lo, s23
	s_delay_alu instid0(VALU_DEP_1) | instskip(NEXT) | instid1(VALU_DEP_1)
	v_fmac_f32_e32 v0, v134, v57
	v_fmac_f32_e32 v0, v139, v58
	s_delay_alu instid0(VALU_DEP_1) | instskip(NEXT) | instid1(VALU_DEP_1)
	v_fmac_f32_e32 v0, v140, v59
	v_fmac_f32_e32 v0, v141, v60
	;; [unrolled: 3-line block ×15, first 2 shown]
	s_delay_alu instid0(VALU_DEP_1)
	v_fmac_f32_e32 v0, v168, v87
	ds_bpermute_b32 v1, v7, v0
	s_waitcnt lgkmcnt(0)
	v_add_f32_e32 v0, v0, v1
	ds_bpermute_b32 v1, v8, v0
	s_waitcnt lgkmcnt(0)
	v_add_f32_e32 v0, v0, v1
	;; [unrolled: 3-line block ×3, first 2 shown]
	s_cbranch_vccnz .LBB28_42
; %bb.41:                               ;   in Loop: Header=BB28_22 Depth=1
	v_add_co_u32 v0, vcc_lo, s18, v19
	v_add_co_ci_u32_e32 v1, vcc_lo, s19, v20, vcc_lo
	global_load_u16 v0, v[0:1], off offset:8
	s_waitcnt vmcnt(0)
	v_fma_mix_f32 v134, v21, v0, v134 op_sel_hi:[0,1,0]
.LBB28_42:                              ;   in Loop: Header=BB28_22 Depth=1
	v_ashrrev_i32_e32 v1, 31, v103
	v_add_co_u32 v0, vcc_lo, v136, v103
	s_delay_alu instid0(VALU_DEP_2)
	v_add_co_ci_u32_e32 v1, vcc_lo, v137, v1, vcc_lo
	s_and_not1_b32 vcc_lo, exec_lo, s22
	s_clause 0x3
	global_load_b128 v[143:146], v[0:1], off
	global_load_b128 v[151:154], v[0:1], off offset:128
	global_load_b128 v[159:162], v[0:1], off offset:256
	;; [unrolled: 1-line block ×3, first 2 shown]
	s_waitcnt vmcnt(3)
	v_lshlrev_b32_e32 v140, 16, v143
	v_and_b32_e32 v142, 0xffff0000, v144
	s_waitcnt vmcnt(2)
	v_and_b32_e32 v148, 0xffff0000, v151
	v_and_b32_e32 v150, 0xffff0000, v152
	s_waitcnt vmcnt(1)
	v_and_b32_e32 v156, 0xffff0000, v159
	v_fma_f32 v0, v140, v24, 0
	v_lshlrev_b32_e32 v141, 16, v144
	v_and_b32_e32 v139, 0xffff0000, v143
	v_and_b32_e32 v144, 0xffff0000, v145
	;; [unrolled: 1-line block ×3, first 2 shown]
	s_waitcnt vmcnt(0)
	v_and_b32_e32 v164, 0xffff0000, v167
	v_and_b32_e32 v166, 0xffff0000, v168
	v_dual_fmac_f32 v0, v139, v25 :: v_dual_lshlrev_b32 v147, 16, v151
	v_lshlrev_b32_e32 v149, 16, v152
	v_and_b32_e32 v152, 0xffff0000, v153
	s_delay_alu instid0(VALU_DEP_3) | instskip(SKIP_3) | instid1(VALU_DEP_4)
	v_dual_fmac_f32 v0, v141, v26 :: v_dual_lshlrev_b32 v151, 16, v153
	v_lshlrev_b32_e32 v143, 16, v145
	v_lshlrev_b32_e32 v145, 16, v146
	v_and_b32_e32 v146, 0xffff0000, v146
	v_dual_fmac_f32 v0, v142, v27 :: v_dual_lshlrev_b32 v153, 16, v154
	v_and_b32_e32 v154, 0xffff0000, v154
	v_lshlrev_b32_e32 v155, 16, v159
	v_lshlrev_b32_e32 v157, 16, v160
	v_and_b32_e32 v160, 0xffff0000, v161
	v_dual_fmac_f32 v0, v143, v28 :: v_dual_lshlrev_b32 v159, 16, v161
	v_lshlrev_b32_e32 v161, 16, v162
	v_and_b32_e32 v162, 0xffff0000, v162
	s_delay_alu instid0(VALU_DEP_3)
	v_dual_fmac_f32 v0, v144, v29 :: v_dual_lshlrev_b32 v163, 16, v167
	v_lshlrev_b32_e32 v165, 16, v168
	v_and_b32_e32 v168, 0xffff0000, v169
	v_lshlrev_b32_e32 v167, 16, v169
	v_lshlrev_b32_e32 v169, 16, v170
	v_fmac_f32_e32 v0, v145, v30
	v_and_b32_e32 v170, 0xffff0000, v170
	s_delay_alu instid0(VALU_DEP_2) | instskip(NEXT) | instid1(VALU_DEP_1)
	v_fmac_f32_e32 v0, v146, v31
	v_fmac_f32_e32 v0, v147, v32
	s_delay_alu instid0(VALU_DEP_1) | instskip(NEXT) | instid1(VALU_DEP_1)
	v_fmac_f32_e32 v0, v148, v33
	v_fmac_f32_e32 v0, v149, v34
	s_delay_alu instid0(VALU_DEP_1) | instskip(NEXT) | instid1(VALU_DEP_1)
	;; [unrolled: 3-line block ×11, first 2 shown]
	v_fmac_f32_e32 v0, v53, v168
	v_fmac_f32_e32 v0, v54, v169
	s_delay_alu instid0(VALU_DEP_1)
	v_fmac_f32_e32 v0, v55, v170
	ds_bpermute_b32 v1, v7, v0
	s_waitcnt lgkmcnt(0)
	v_add_f32_e32 v0, v0, v1
	ds_bpermute_b32 v1, v8, v0
	s_waitcnt lgkmcnt(0)
	v_add_f32_e32 v0, v0, v1
	;; [unrolled: 3-line block ×3, first 2 shown]
	s_cbranch_vccnz .LBB28_44
; %bb.43:                               ;   in Loop: Header=BB28_22 Depth=1
	global_load_u16 v0, v135, s[18:19] offset:10
	s_waitcnt vmcnt(0)
	v_fma_mix_f32 v138, v21, v0, v138 op_sel_hi:[0,1,0]
.LBB28_44:                              ;   in Loop: Header=BB28_22 Depth=1
	v_fma_f32 v0, v140, v56, 0
	s_and_not1_b32 vcc_lo, exec_lo, s23
	s_delay_alu instid0(VALU_DEP_1) | instskip(NEXT) | instid1(VALU_DEP_1)
	v_fmac_f32_e32 v0, v139, v57
	v_fmac_f32_e32 v0, v141, v58
	s_delay_alu instid0(VALU_DEP_1) | instskip(NEXT) | instid1(VALU_DEP_1)
	v_fmac_f32_e32 v0, v142, v59
	v_fmac_f32_e32 v0, v143, v60
	;; [unrolled: 3-line block ×15, first 2 shown]
	s_delay_alu instid0(VALU_DEP_1)
	v_fmac_f32_e32 v0, v170, v87
	ds_bpermute_b32 v1, v7, v0
	s_waitcnt lgkmcnt(0)
	v_add_f32_e32 v0, v0, v1
	ds_bpermute_b32 v1, v8, v0
	s_waitcnt lgkmcnt(0)
	v_add_f32_e32 v0, v0, v1
	;; [unrolled: 3-line block ×3, first 2 shown]
	s_cbranch_vccnz .LBB28_46
; %bb.45:                               ;   in Loop: Header=BB28_22 Depth=1
	v_add_co_u32 v0, vcc_lo, s18, v19
	v_add_co_ci_u32_e32 v1, vcc_lo, s19, v20, vcc_lo
	global_load_u16 v0, v[0:1], off offset:10
	s_waitcnt vmcnt(0)
	v_fma_mix_f32 v139, v21, v0, v139 op_sel_hi:[0,1,0]
.LBB28_46:                              ;   in Loop: Header=BB28_22 Depth=1
	v_ashrrev_i32_e32 v1, 31, v106
	v_add_co_u32 v0, vcc_lo, v136, v106
	s_delay_alu instid0(VALU_DEP_2)
	v_add_co_ci_u32_e32 v1, vcc_lo, v137, v1, vcc_lo
	s_and_not1_b32 vcc_lo, exec_lo, s22
	s_clause 0x3
	global_load_b128 v[145:148], v[0:1], off
	global_load_b128 v[153:156], v[0:1], off offset:128
	global_load_b128 v[161:164], v[0:1], off offset:256
	;; [unrolled: 1-line block ×3, first 2 shown]
	s_waitcnt vmcnt(3)
	v_lshlrev_b32_e32 v142, 16, v145
	v_and_b32_e32 v144, 0xffff0000, v146
	s_waitcnt vmcnt(2)
	v_and_b32_e32 v150, 0xffff0000, v153
	v_and_b32_e32 v152, 0xffff0000, v154
	s_waitcnt vmcnt(1)
	v_and_b32_e32 v158, 0xffff0000, v161
	v_fma_f32 v0, v142, v24, 0
	v_lshlrev_b32_e32 v143, 16, v146
	v_and_b32_e32 v141, 0xffff0000, v145
	v_and_b32_e32 v146, 0xffff0000, v147
	v_lshlrev_b32_e32 v145, 16, v147
	v_and_b32_e32 v160, 0xffff0000, v162
	s_waitcnt vmcnt(0)
	v_and_b32_e32 v166, 0xffff0000, v169
	v_fmac_f32_e32 v0, v141, v25
	v_and_b32_e32 v168, 0xffff0000, v170
	v_lshlrev_b32_e32 v147, 16, v148
	v_and_b32_e32 v148, 0xffff0000, v148
	s_delay_alu instid0(VALU_DEP_4) | instskip(SKIP_3) | instid1(VALU_DEP_4)
	v_dual_fmac_f32 v0, v143, v26 :: v_dual_lshlrev_b32 v149, 16, v153
	v_lshlrev_b32_e32 v153, 16, v155
	v_lshlrev_b32_e32 v151, 16, v154
	v_and_b32_e32 v154, 0xffff0000, v155
	v_dual_fmac_f32 v0, v144, v27 :: v_dual_lshlrev_b32 v157, 16, v161
	v_lshlrev_b32_e32 v155, 16, v156
	v_and_b32_e32 v156, 0xffff0000, v156
	v_lshlrev_b32_e32 v161, 16, v163
	s_delay_alu instid0(VALU_DEP_4)
	v_dual_fmac_f32 v0, v145, v28 :: v_dual_lshlrev_b32 v159, 16, v162
	v_and_b32_e32 v162, 0xffff0000, v163
	v_lshlrev_b32_e32 v165, 16, v169
	v_lshlrev_b32_e32 v163, 16, v164
	v_and_b32_e32 v164, 0xffff0000, v164
	v_dual_fmac_f32 v0, v146, v29 :: v_dual_lshlrev_b32 v169, 16, v171
	v_lshlrev_b32_e32 v167, 16, v170
	v_and_b32_e32 v170, 0xffff0000, v171
	s_delay_alu instid0(VALU_DEP_3) | instskip(SKIP_1) | instid1(VALU_DEP_2)
	v_dual_fmac_f32 v0, v147, v30 :: v_dual_lshlrev_b32 v171, 16, v172
	v_and_b32_e32 v172, 0xffff0000, v172
	v_fmac_f32_e32 v0, v148, v31
	s_delay_alu instid0(VALU_DEP_1) | instskip(NEXT) | instid1(VALU_DEP_1)
	v_fmac_f32_e32 v0, v149, v32
	v_fmac_f32_e32 v0, v150, v33
	s_delay_alu instid0(VALU_DEP_1) | instskip(NEXT) | instid1(VALU_DEP_1)
	v_fmac_f32_e32 v0, v151, v34
	;; [unrolled: 3-line block ×12, first 2 shown]
	v_fmac_f32_e32 v0, v55, v172
	ds_bpermute_b32 v1, v7, v0
	s_waitcnt lgkmcnt(0)
	v_add_f32_e32 v0, v0, v1
	ds_bpermute_b32 v1, v8, v0
	s_waitcnt lgkmcnt(0)
	v_add_f32_e32 v0, v0, v1
	;; [unrolled: 3-line block ×3, first 2 shown]
	s_cbranch_vccnz .LBB28_48
; %bb.47:                               ;   in Loop: Header=BB28_22 Depth=1
	global_load_u16 v0, v135, s[18:19] offset:12
	s_waitcnt vmcnt(0)
	v_fma_mix_f32 v140, v21, v0, v140 op_sel_hi:[0,1,0]
.LBB28_48:                              ;   in Loop: Header=BB28_22 Depth=1
	v_fma_f32 v0, v142, v56, 0
	s_and_not1_b32 vcc_lo, exec_lo, s23
	s_delay_alu instid0(VALU_DEP_1) | instskip(NEXT) | instid1(VALU_DEP_1)
	v_fmac_f32_e32 v0, v141, v57
	v_fmac_f32_e32 v0, v143, v58
	s_delay_alu instid0(VALU_DEP_1) | instskip(NEXT) | instid1(VALU_DEP_1)
	v_fmac_f32_e32 v0, v144, v59
	v_fmac_f32_e32 v0, v145, v60
	;; [unrolled: 3-line block ×15, first 2 shown]
	s_delay_alu instid0(VALU_DEP_1)
	v_fmac_f32_e32 v0, v172, v87
	ds_bpermute_b32 v1, v7, v0
	s_waitcnt lgkmcnt(0)
	v_add_f32_e32 v0, v0, v1
	ds_bpermute_b32 v1, v8, v0
	s_waitcnt lgkmcnt(0)
	v_add_f32_e32 v0, v0, v1
	ds_bpermute_b32 v1, v9, v0
	s_waitcnt lgkmcnt(0)
	v_add_f32_e32 v141, v0, v1
	s_cbranch_vccnz .LBB28_50
; %bb.49:                               ;   in Loop: Header=BB28_22 Depth=1
	v_add_co_u32 v0, vcc_lo, s18, v19
	v_add_co_ci_u32_e32 v1, vcc_lo, s19, v20, vcc_lo
	global_load_u16 v0, v[0:1], off offset:12
	s_waitcnt vmcnt(0)
	v_fma_mix_f32 v141, v21, v0, v141 op_sel_hi:[0,1,0]
.LBB28_50:                              ;   in Loop: Header=BB28_22 Depth=1
	s_clause 0x1
	scratch_load_b32 v0, off, off offset:188
	scratch_load_b32 v1, off, off offset:192
	s_waitcnt vmcnt(1)
	v_add_co_u32 v0, vcc_lo, v136, v0
	s_waitcnt vmcnt(0)
	v_add_co_ci_u32_e32 v1, vcc_lo, v137, v1, vcc_lo
	s_and_not1_b32 vcc_lo, exec_lo, s22
	s_clause 0x3
	global_load_b128 v[144:147], v[0:1], off
	global_load_b128 v[152:155], v[0:1], off offset:128
	global_load_b128 v[159:162], v[0:1], off offset:256
	;; [unrolled: 1-line block ×3, first 2 shown]
	s_waitcnt vmcnt(3)
	v_lshlrev_b32_e32 v164, 16, v144
	v_lshlrev_b32_e32 v142, 16, v145
	v_and_b32_e32 v137, 0xffff0000, v144
	v_lshlrev_b32_e32 v144, 16, v146
	v_and_b32_e32 v143, 0xffff0000, v145
	v_fma_f32 v0, v164, v24, 0
	s_waitcnt vmcnt(2)
	v_lshlrev_b32_e32 v148, 16, v152
	v_lshlrev_b32_e32 v150, 16, v153
	s_waitcnt vmcnt(1)
	v_lshlrev_b32_e32 v156, 16, v159
	v_lshlrev_b32_e32 v158, 16, v160
	v_dual_fmac_f32 v0, v137, v25 :: v_dual_and_b32 v145, 0xffff0000, v146
	v_lshlrev_b32_e32 v146, 16, v147
	s_waitcnt vmcnt(0)
	v_lshlrev_b32_e32 v168, 16, v171
	v_lshlrev_b32_e32 v166, 16, v170
	v_dual_fmac_f32 v0, v142, v26 :: v_dual_and_b32 v149, 0xffff0000, v152
	v_lshlrev_b32_e32 v152, 16, v154
	v_and_b32_e32 v147, 0xffff0000, v147
	s_delay_alu instid0(VALU_DEP_3) | instskip(SKIP_3) | instid1(VALU_DEP_4)
	v_dual_fmac_f32 v0, v143, v27 :: v_dual_and_b32 v151, 0xffff0000, v153
	v_and_b32_e32 v153, 0xffff0000, v154
	v_lshlrev_b32_e32 v154, 16, v155
	v_and_b32_e32 v155, 0xffff0000, v155
	v_dual_fmac_f32 v0, v144, v28 :: v_dual_and_b32 v157, 0xffff0000, v159
	v_and_b32_e32 v159, 0xffff0000, v160
	v_lshlrev_b32_e32 v160, 16, v161
	v_and_b32_e32 v161, 0xffff0000, v161
	s_delay_alu instid0(VALU_DEP_4) | instskip(SKIP_3) | instid1(VALU_DEP_4)
	v_dual_fmac_f32 v0, v145, v29 :: v_dual_lshlrev_b32 v163, 16, v162
	v_and_b32_e32 v162, 0xffff0000, v162
	v_and_b32_e32 v165, 0xffff0000, v170
	v_lshlrev_b32_e32 v170, 16, v172
	v_dual_fmac_f32 v0, v146, v30 :: v_dual_and_b32 v167, 0xffff0000, v171
	v_and_b32_e32 v169, 0xffff0000, v172
	v_lshlrev_b32_e32 v172, 16, v173
	s_delay_alu instid0(VALU_DEP_3) | instskip(NEXT) | instid1(VALU_DEP_1)
	v_dual_fmac_f32 v0, v147, v31 :: v_dual_and_b32 v171, 0xffff0000, v173
	v_fmac_f32_e32 v0, v148, v32
	s_delay_alu instid0(VALU_DEP_1) | instskip(NEXT) | instid1(VALU_DEP_1)
	v_fmac_f32_e32 v0, v149, v33
	v_fmac_f32_e32 v0, v150, v34
	s_delay_alu instid0(VALU_DEP_1) | instskip(NEXT) | instid1(VALU_DEP_1)
	v_fmac_f32_e32 v0, v151, v35
	;; [unrolled: 3-line block ×11, first 2 shown]
	v_fmac_f32_e32 v0, v172, v54
	s_delay_alu instid0(VALU_DEP_1)
	v_fmac_f32_e32 v0, v171, v55
	ds_bpermute_b32 v1, v7, v0
	s_waitcnt lgkmcnt(0)
	v_add_f32_e32 v0, v0, v1
	ds_bpermute_b32 v1, v8, v0
	s_waitcnt lgkmcnt(0)
	v_add_f32_e32 v0, v0, v1
	ds_bpermute_b32 v1, v9, v0
	s_waitcnt lgkmcnt(0)
	v_add_f32_e32 v136, v0, v1
	s_cbranch_vccnz .LBB28_52
; %bb.51:                               ;   in Loop: Header=BB28_22 Depth=1
	global_load_u16 v0, v135, s[18:19] offset:14
	s_waitcnt vmcnt(0)
	v_fma_mix_f32 v136, v21, v0, v136 op_sel_hi:[0,1,0]
.LBB28_52:                              ;   in Loop: Header=BB28_22 Depth=1
	v_fma_f32 v0, v164, v56, 0
	s_and_not1_b32 vcc_lo, exec_lo, s23
	s_delay_alu instid0(VALU_DEP_1) | instskip(NEXT) | instid1(VALU_DEP_1)
	v_fmac_f32_e32 v0, v137, v57
	v_fmac_f32_e32 v0, v142, v58
	s_delay_alu instid0(VALU_DEP_1) | instskip(NEXT) | instid1(VALU_DEP_1)
	v_fmac_f32_e32 v0, v143, v59
	v_fmac_f32_e32 v0, v144, v60
	;; [unrolled: 3-line block ×15, first 2 shown]
	s_delay_alu instid0(VALU_DEP_1)
	v_fmac_f32_e32 v0, v171, v87
	ds_bpermute_b32 v1, v7, v0
	s_waitcnt lgkmcnt(0)
	v_add_f32_e32 v0, v0, v1
	ds_bpermute_b32 v1, v8, v0
	s_waitcnt lgkmcnt(0)
	v_add_f32_e32 v0, v0, v1
	;; [unrolled: 3-line block ×3, first 2 shown]
	s_cbranch_vccnz .LBB28_54
; %bb.53:                               ;   in Loop: Header=BB28_22 Depth=1
	v_add_co_u32 v0, vcc_lo, s18, v19
	v_add_co_ci_u32_e32 v1, vcc_lo, s19, v20, vcc_lo
	global_load_u16 v0, v[0:1], off offset:14
	s_waitcnt vmcnt(0)
	v_fma_mix_f32 v135, v21, v0, v135 op_sel_hi:[0,1,0]
.LBB28_54:                              ;   in Loop: Header=BB28_22 Depth=1
	v_add_f32_e32 v0, 0x40051340, v5
	v_dual_add_f32 v1, 0x40051340, v13 :: v_dual_add_f32 v2, 0x40051340, v131
	s_add_i32 s16, s26, s16
	s_add_u32 s17, s17, s21
	s_addc_u32 s20, s20, 0
	s_delay_alu instid0(VALU_DEP_1) | instskip(SKIP_2) | instid1(VALU_DEP_2)
	v_max3_f32 v0, v4, v0, v1
	v_add_f32_e32 v1, 0x40051340, v129
	v_add_f32_e32 v3, 0x40051340, v139
	v_max3_f32 v137, v0, v1, v2
	v_add_f32_e32 v0, 0x40051340, v12
	v_add_f32_e32 v1, 0x40051340, v128
	v_add_f32_e32 v2, 0x40051340, v132
	s_delay_alu instid0(VALU_DEP_2) | instskip(SKIP_1) | instid1(VALU_DEP_1)
	v_max3_f32 v0, v127, v0, v1
	v_add_f32_e32 v1, 0x40051340, v130
	v_max3_f32 v0, v0, v1, v2
	v_dual_add_f32 v1, 0x40051340, v133 :: v_dual_add_f32 v2, 0x40051340, v138
	s_delay_alu instid0(VALU_DEP_1) | instskip(SKIP_1) | instid1(VALU_DEP_1)
	v_max3_f32 v1, v137, v1, v2
	v_add_f32_e32 v2, 0x40051340, v134
	v_max3_f32 v0, v0, v2, v3
	v_add_f32_e32 v2, 0x40051340, v140
	v_add_f32_e32 v3, 0x40051340, v136
	s_delay_alu instid0(VALU_DEP_1) | instskip(SKIP_1) | instid1(VALU_DEP_1)
	v_max3_f32 v1, v1, v2, v3
	v_dual_add_f32 v2, 0x40051340, v141 :: v_dual_add_f32 v3, 0x40051340, v135
	v_max3_f32 v0, v0, v2, v3
	v_cndmask_b32_e64 v2, v125, v5, s2
	ds_bpermute_b32 v5, v89, v1
	v_cndmask_b32_e64 v3, v126, v12, s2
	v_cndmask_b32_e64 v2, v2, v13, s3
	s_delay_alu instid0(VALU_DEP_2) | instskip(NEXT) | instid1(VALU_DEP_2)
	v_cndmask_b32_e64 v3, v3, v128, s3
	v_cndmask_b32_e64 v2, v2, v129, s4
	s_delay_alu instid0(VALU_DEP_2) | instskip(NEXT) | instid1(VALU_DEP_2)
	;; [unrolled: 3-line block ×3, first 2 shown]
	v_cndmask_b32_e64 v3, v3, v132, s5
	v_cndmask_b32_e64 v2, v2, v133, s6
	s_waitcnt lgkmcnt(0)
	v_max_f32_e32 v5, v5, v5
	s_delay_alu instid0(VALU_DEP_3)
	v_cndmask_b32_e64 v3, v3, v134, s6
	scratch_load_b128 v[131:134], off, off
	v_cndmask_b32_e64 v2, v2, v138, s7
	v_max_f32_e32 v1, v1, v5
	ds_bpermute_b32 v5, v89, v0
	v_cndmask_b32_e64 v3, v3, v139, s7
	v_cndmask_b32_e64 v2, v2, v140, s8
	s_delay_alu instid0(VALU_DEP_2) | instskip(SKIP_2) | instid1(VALU_DEP_1)
	v_cndmask_b32_e64 v3, v3, v141, s8
	s_waitcnt lgkmcnt(0)
	v_max_f32_e32 v5, v5, v5
	v_max_f32_e32 v0, v0, v5
	ds_bpermute_b32 v5, v90, v1
	ds_bpermute_b32 v12, v90, v0
	s_waitcnt lgkmcnt(1)
	v_max_f32_e32 v5, v5, v5
	s_waitcnt lgkmcnt(0)
	s_delay_alu instid0(VALU_DEP_1)
	v_dual_max_f32 v13, v12, v12 :: v_dual_max_f32 v12, v1, v5
	v_cndmask_b32_e64 v1, v2, v136, s9
	v_cndmask_b32_e64 v2, v3, v135, s9
	scratch_load_b128 v[135:138], off, off offset:16
	v_sub_f32_e32 v1, v1, v12
	v_max_f32_e32 v13, v0, v13
	v_sub_f32_e32 v0, v4, v12
	s_delay_alu instid0(VALU_DEP_1) | instskip(SKIP_1) | instid1(VALU_DEP_2)
	v_dual_mul_f32 v4, 0x3fb8aa3b, v1 :: v_dual_mul_f32 v3, 0x3fb8aa3b, v0
	v_cmp_ngt_f32_e32 vcc_lo, 0xc2ce8ed0, v0
	v_fma_f32 v16, 0x3fb8aa3b, v1, -v4
	v_rndne_f32_e32 v95, v4
	s_delay_alu instid0(VALU_DEP_4) | instskip(SKIP_1) | instid1(VALU_DEP_4)
	v_fma_f32 v14, 0x3fb8aa3b, v0, -v3
	v_rndne_f32_e32 v15, v3
	v_fmac_f32_e32 v16, 0x32a5705f, v1
	s_delay_alu instid0(VALU_DEP_4) | instskip(NEXT) | instid1(VALU_DEP_3)
	v_sub_f32_e32 v4, v4, v95
	v_dual_fmac_f32 v14, 0x32a5705f, v0 :: v_dual_sub_f32 v3, v3, v15
	s_delay_alu instid0(VALU_DEP_1) | instskip(SKIP_1) | instid1(VALU_DEP_2)
	v_dual_add_f32 v4, v4, v16 :: v_dual_add_f32 v3, v3, v14
	v_cvt_i32_f32_e32 v14, v15
	v_exp_f32_e32 v4, v4
	s_delay_alu instid0(VALU_DEP_2) | instskip(SKIP_3) | instid1(VALU_DEP_2)
	v_exp_f32_e32 v3, v3
	s_waitcnt_depctr 0xfff
	v_ldexp_f32 v3, v3, v14
	v_cvt_i32_f32_e32 v14, v95
	v_cndmask_b32_e32 v3, 0, v3, vcc_lo
	v_cmp_nlt_f32_e32 vcc_lo, 0x42b17218, v0
	s_delay_alu instid0(VALU_DEP_3) | instskip(NEXT) | instid1(VALU_DEP_3)
	v_ldexp_f32 v4, v4, v14
	v_cndmask_b32_e32 v128, 0x7f800000, v3, vcc_lo
	v_sub_f32_e32 v2, v2, v13
	v_cmp_ngt_f32_e32 vcc_lo, 0xc2ce8ed0, v1
	s_delay_alu instid0(VALU_DEP_3) | instskip(NEXT) | instid1(VALU_DEP_3)
	v_cvt_f16_f32_e64 v130, v128
	v_dual_mul_f32 v5, 0x3fb8aa3b, v2 :: v_dual_cndmask_b32 v0, 0, v4
	s_delay_alu instid0(VALU_DEP_1) | instskip(SKIP_1) | instid1(VALU_DEP_1)
	v_fma_f32 v17, 0x3fb8aa3b, v2, -v5
	v_rndne_f32_e32 v96, v5
	v_sub_f32_e32 v5, v5, v96
	s_delay_alu instid0(VALU_DEP_3) | instskip(SKIP_2) | instid1(VALU_DEP_3)
	v_fmac_f32_e32 v17, 0x32a5705f, v2
	v_cvt_i32_f32_e32 v15, v96
	v_cmp_ngt_f32_e32 vcc_lo, 0xc2ce8ed0, v2
	v_add_f32_e32 v5, v5, v17
	s_delay_alu instid0(VALU_DEP_1) | instskip(SKIP_2) | instid1(VALU_DEP_1)
	v_exp_f32_e32 v5, v5
	s_waitcnt_depctr 0xfff
	v_ldexp_f32 v5, v5, v15
	v_cndmask_b32_e32 v3, 0, v5, vcc_lo
	v_cmp_nlt_f32_e32 vcc_lo, 0x42b17218, v1
	scratch_load_b32 v1, off, off offset:196 ; 4-byte Folded Reload
	v_cndmask_b32_e32 v125, 0x7f800000, v0, vcc_lo
	scratch_load_b32 v0, off, off offset:140 ; 4-byte Folded Reload
	v_cmp_nlt_f32_e32 vcc_lo, 0x42b17218, v2
	v_cvt_f16_f32_e32 v2, v125
	v_fma_f32 v10, v10, v128, v125
	v_cndmask_b32_e32 v126, 0x7f800000, v3, vcc_lo
	s_delay_alu instid0(VALU_DEP_1)
	v_cvt_f16_f32_e32 v3, v126
	ds_store_b16 v18, v2
	ds_store_b16 v18, v3 offset:256
	s_waitcnt vmcnt(3)
	v_pk_mul_f16 v139, v130, v131 op_sel_hi:[0,1]
	v_pk_mul_f16 v140, v130, v132 op_sel_hi:[0,1]
	;; [unrolled: 1-line block ×4, first 2 shown]
	s_waitcnt vmcnt(2)
	v_pk_mul_f16 v131, v130, v135 op_sel_hi:[0,1]
	v_pk_mul_f16 v132, v130, v136 op_sel_hi:[0,1]
	;; [unrolled: 1-line block ×4, first 2 shown]
	s_clause 0x1
	scratch_store_b128 off, v[139:142], off
	scratch_store_b128 off, v[131:134], off offset:16
	ds_load_u16 v131, v91
	ds_load_u16 v129, v91 offset:8
	ds_load_u16 v132, v91 offset:16
	;; [unrolled: 1-line block ×7, first 2 shown]
	s_waitcnt vmcnt(0)
	v_add_co_u32 v0, vcc_lo, s11, v0
	v_add_co_ci_u32_e32 v1, vcc_lo, s13, v1, vcc_lo
	s_delay_alu instid0(VALU_DEP_2) | instskip(NEXT) | instid1(VALU_DEP_2)
	v_add_co_u32 v4, vcc_lo, v0, v105
	v_add_co_ci_u32_e32 v5, vcc_lo, 0, v1, vcc_lo
	s_clause 0x1
	global_load_b128 v[134:137], v[4:5], off
	global_load_b128 v[143:146], v[4:5], off offset:128
	v_sub_f32_e32 v0, v127, v13
	s_clause 0x1
	scratch_load_b128 v[147:150], off, off offset:80
	scratch_load_b128 v[151:154], off, off offset:96
	v_mul_f32_e32 v1, 0x3fb8aa3b, v0
	v_cmp_ngt_f32_e32 vcc_lo, 0xc2ce8ed0, v0
	s_delay_alu instid0(VALU_DEP_2) | instskip(SKIP_1) | instid1(VALU_DEP_1)
	v_fma_f32 v2, 0x3fb8aa3b, v0, -v1
	v_rndne_f32_e32 v3, v1
	v_dual_fmac_f32 v2, 0x32a5705f, v0 :: v_dual_sub_f32 v1, v1, v3
	s_delay_alu instid0(VALU_DEP_1) | instskip(SKIP_1) | instid1(VALU_DEP_2)
	v_add_f32_e32 v1, v1, v2
	v_cvt_i32_f32_e32 v2, v3
	v_exp_f32_e32 v1, v1
	s_waitcnt_depctr 0xfff
	v_ldexp_f32 v1, v1, v2
	s_delay_alu instid0(VALU_DEP_1)
	v_cndmask_b32_e32 v1, 0, v1, vcc_lo
	v_cmp_nlt_f32_e32 vcc_lo, 0x42b17218, v0
	scratch_load_b32 v0, off, off offset:148 ; 4-byte Folded Reload
	v_cndmask_b32_e32 v127, 0x7f800000, v1, vcc_lo
	scratch_load_b32 v1, off, off offset:200 ; 4-byte Folded Reload
	v_cvt_f16_f32_e32 v22, v127
	v_fma_f32 v11, v11, v127, v126
	s_waitcnt vmcnt(5) lgkmcnt(7)
	v_pk_fma_f16 v138, v134, v131, v139 op_sel_hi:[1,0,1]
	v_pk_fma_f16 v139, v135, v131, v140 op_sel_hi:[1,0,1]
	;; [unrolled: 1-line block ×4, first 2 shown]
	s_waitcnt vmcnt(3)
	v_pk_mul_f16 v150, v22, v150 op_sel_hi:[0,1]
	s_waitcnt vmcnt(2)
	v_pk_mul_f16 v151, v22, v151 op_sel_hi:[0,1]
	v_pk_mul_f16 v152, v22, v152 op_sel_hi:[0,1]
	v_pk_mul_f16 v153, v22, v153 op_sel_hi:[0,1]
	scratch_store_b128 off, v[138:141], off
	scratch_load_b128 v[138:141], off, off offset:16
	s_waitcnt vmcnt(2)
	v_add_co_u32 v0, vcc_lo, s11, v0
	s_waitcnt vmcnt(1)
	v_add_co_ci_u32_e32 v1, vcc_lo, s13, v1, vcc_lo
	s_delay_alu instid0(VALU_DEP_2) | instskip(NEXT) | instid1(VALU_DEP_2)
	v_add_co_u32 v0, vcc_lo, v0, v105
	v_add_co_ci_u32_e32 v1, vcc_lo, 0, v1, vcc_lo
	scratch_load_b128 v[155:158], off, off
	s_clause 0x1
	global_load_b128 v[159:162], v[0:1], off
	global_load_b128 v[163:166], v[0:1], off offset:128
	s_waitcnt vmcnt(3)
	v_pk_fma_f16 v138, v143, v131, v138 op_sel_hi:[1,0,1]
	v_pk_fma_f16 v139, v144, v131, v139 op_sel_hi:[1,0,1]
	;; [unrolled: 1-line block ×4, first 2 shown]
	s_waitcnt vmcnt(1) lgkmcnt(6)
	v_pk_fma_f16 v155, v159, v129, v155 op_sel_hi:[1,0,1]
	v_pk_fma_f16 v156, v160, v129, v156 op_sel_hi:[1,0,1]
	;; [unrolled: 1-line block ×4, first 2 shown]
	s_clause 0x1
	scratch_store_b128 off, v[138:141], off offset:16
	scratch_store_b128 off, v[155:158], off
	s_clause 0x3
	scratch_load_b128 v[138:141], off, off offset:16
	scratch_load_b128 v[155:158], off, off
	scratch_load_b32 v2, off, off offset:152
	scratch_load_b32 v3, off, off offset:204
	s_waitcnt vmcnt(3)
	v_pk_fma_f16 v138, v163, v129, v138 op_sel_hi:[1,0,1]
	v_pk_fma_f16 v139, v164, v129, v139 op_sel_hi:[1,0,1]
	;; [unrolled: 1-line block ×4, first 2 shown]
	s_waitcnt vmcnt(1)
	v_add_co_u32 v2, vcc_lo, s11, v2
	s_waitcnt vmcnt(0)
	v_add_co_ci_u32_e32 v3, vcc_lo, s13, v3, vcc_lo
	s_delay_alu instid0(VALU_DEP_2) | instskip(NEXT) | instid1(VALU_DEP_2)
	v_add_co_u32 v2, vcc_lo, v2, v105
	v_add_co_ci_u32_e32 v3, vcc_lo, 0, v3, vcc_lo
	s_clause 0x1
	global_load_b128 v[167:170], v[2:3], off
	global_load_b128 v[171:174], v[2:3], off offset:128
	s_waitcnt vmcnt(1) lgkmcnt(5)
	v_pk_fma_f16 v155, v167, v132, v155 op_sel_hi:[1,0,1]
	v_pk_fma_f16 v156, v168, v132, v156 op_sel_hi:[1,0,1]
	v_pk_fma_f16 v157, v169, v132, v157 op_sel_hi:[1,0,1]
	v_pk_fma_f16 v158, v170, v132, v158 op_sel_hi:[1,0,1]
	s_clause 0x1
	scratch_store_b128 off, v[138:141], off offset:16
	scratch_store_b128 off, v[155:158], off
	s_clause 0x2
	scratch_load_b128 v[138:141], off, off offset:16
	scratch_load_b128 v[155:158], off, off
	scratch_load_b32 v6, off, off offset:156
	s_waitcnt vmcnt(2)
	v_pk_fma_f16 v138, v171, v132, v138 op_sel_hi:[1,0,1]
	v_pk_fma_f16 v139, v172, v132, v139 op_sel_hi:[1,0,1]
	v_pk_fma_f16 v140, v173, v132, v140 op_sel_hi:[1,0,1]
	v_pk_fma_f16 v141, v174, v132, v141 op_sel_hi:[1,0,1]
	s_waitcnt vmcnt(0)
	v_add_co_u32 v14, vcc_lo, s11, v6
	scratch_load_b32 v6, off, off offset:208 ; 4-byte Folded Reload
	s_waitcnt vmcnt(0)
	v_add_co_ci_u32_e32 v15, vcc_lo, s13, v6, vcc_lo
	v_add_co_u32 v14, vcc_lo, v14, v105
	s_delay_alu instid0(VALU_DEP_2)
	v_add_co_ci_u32_e32 v15, vcc_lo, 0, v15, vcc_lo
	s_clause 0x1
	global_load_b128 v[175:178], v[14:15], off
	global_load_b128 v[179:182], v[14:15], off offset:128
	s_waitcnt vmcnt(1) lgkmcnt(4)
	v_pk_fma_f16 v155, v175, v133, v155 op_sel_hi:[1,0,1]
	v_pk_fma_f16 v156, v176, v133, v156 op_sel_hi:[1,0,1]
	v_pk_fma_f16 v157, v177, v133, v157 op_sel_hi:[1,0,1]
	v_pk_fma_f16 v158, v178, v133, v158 op_sel_hi:[1,0,1]
	s_clause 0x1
	scratch_store_b128 off, v[138:141], off offset:16
	scratch_store_b128 off, v[155:158], off
	s_clause 0x2
	scratch_load_b128 v[138:141], off, off offset:16
	scratch_load_b128 v[155:158], off, off
	scratch_load_b32 v6, off, off offset:160
	s_waitcnt vmcnt(2)
	v_pk_fma_f16 v138, v179, v133, v138 op_sel_hi:[1,0,1]
	v_pk_fma_f16 v139, v180, v133, v139 op_sel_hi:[1,0,1]
	v_pk_fma_f16 v140, v181, v133, v140 op_sel_hi:[1,0,1]
	v_pk_fma_f16 v141, v182, v133, v141 op_sel_hi:[1,0,1]
	s_waitcnt vmcnt(0)
	v_add_co_u32 v16, vcc_lo, s11, v6
	scratch_load_b32 v6, off, off offset:212 ; 4-byte Folded Reload
	s_waitcnt vmcnt(0)
	v_add_co_ci_u32_e32 v17, vcc_lo, s13, v6, vcc_lo
	v_add_co_u32 v16, vcc_lo, v16, v105
	s_delay_alu instid0(VALU_DEP_2)
	;; [unrolled: 28-line block ×4, first 2 shown]
	v_add_co_ci_u32_e32 v100, vcc_lo, 0, v100, vcc_lo
	s_clause 0x1
	global_load_b128 v[199:202], v[99:100], off
	global_load_b128 v[203:206], v[99:100], off offset:128
	s_waitcnt vmcnt(1) lgkmcnt(1)
	v_pk_fma_f16 v155, v199, v101, v155 op_sel_hi:[1,0,1]
	v_pk_fma_f16 v156, v200, v101, v156 op_sel_hi:[1,0,1]
	;; [unrolled: 1-line block ×4, first 2 shown]
	s_clause 0x1
	scratch_store_b128 off, v[138:141], off offset:16
	scratch_store_b128 off, v[155:158], off
	s_clause 0x2
	scratch_load_b128 v[138:141], off, off offset:16
	scratch_load_b128 v[155:158], off, off
	scratch_load_b32 v6, off, off offset:172
	s_waitcnt vmcnt(2)
	v_pk_fma_f16 v138, v203, v101, v138 op_sel_hi:[1,0,1]
	v_pk_fma_f16 v139, v204, v101, v139 op_sel_hi:[1,0,1]
	;; [unrolled: 1-line block ×4, first 2 shown]
	s_waitcnt vmcnt(0)
	v_add_co_u32 v102, vcc_lo, s11, v6
	scratch_load_b32 v6, off, off offset:224 ; 4-byte Folded Reload
	s_add_u32 s11, s11, s10
	s_waitcnt vmcnt(0)
	v_add_co_ci_u32_e32 v107, vcc_lo, s13, v6, vcc_lo
	s_addc_u32 s13, s13, 0
	s_lshl_b64 s[40:41], s[26:27], 1
	v_add_co_u32 v123, vcc_lo, v102, v105
	s_add_u32 s18, s18, s40
	s_addc_u32 s19, s19, s41
	s_cmp_ge_i32 s16, s38
	v_add_co_ci_u32_e32 v124, vcc_lo, 0, v107, vcc_lo
	s_clause 0x1
	global_load_b128 v[207:210], v[123:124], off
	global_load_b128 v[211:214], v[123:124], off offset:128
	scratch_store_b128 off, v[138:141], off offset:16
	s_clause 0x2
	scratch_load_b128 v[138:141], off, off offset:32
	scratch_load_b128 v[215:218], off, off offset:16
	;; [unrolled: 1-line block ×3, first 2 shown]
	s_waitcnt vmcnt(4) lgkmcnt(0)
	v_pk_fma_f16 v155, v207, v255, v155 op_sel_hi:[1,0,1]
	v_pk_fma_f16 v156, v208, v255, v156 op_sel_hi:[1,0,1]
	;; [unrolled: 1-line block ×4, first 2 shown]
	s_waitcnt vmcnt(2)
	v_pk_mul_f16 v138, v130, v138 op_sel_hi:[0,1]
	v_pk_mul_f16 v139, v130, v139 op_sel_hi:[0,1]
	;; [unrolled: 1-line block ×4, first 2 shown]
	s_waitcnt vmcnt(0)
	v_pk_mul_f16 v219, v130, v219 op_sel_hi:[0,1]
	v_pk_mul_f16 v220, v130, v220 op_sel_hi:[0,1]
	;; [unrolled: 1-line block ×4, first 2 shown]
	v_pk_fma_f16 v215, v211, v255, v215 op_sel_hi:[1,0,1]
	v_pk_fma_f16 v216, v212, v255, v216 op_sel_hi:[1,0,1]
	;; [unrolled: 1-line block ×4, first 2 shown]
	scratch_store_b128 off, v[138:141], off offset:32
	s_clause 0x1
	global_load_b128 v[138:141], v[4:5], off offset:256
	global_load_b128 v[223:226], v[4:5], off offset:384
	scratch_load_b128 v[227:230], off, off offset:32
	s_waitcnt vmcnt(0)
	v_pk_fma_f16 v227, v138, v131, v227 op_sel_hi:[1,0,1]
	v_pk_fma_f16 v228, v139, v131, v228 op_sel_hi:[1,0,1]
	;; [unrolled: 1-line block ×4, first 2 shown]
	scratch_store_b128 off, v[219:222], off offset:48
	scratch_load_b128 v[219:222], off, off offset:48
	scratch_store_b128 off, v[227:230], off offset:32
	s_clause 0x1
	global_load_b128 v[227:230], v[0:1], off offset:256
	global_load_b128 v[231:234], v[0:1], off offset:384
	scratch_load_b128 v[235:238], off, off offset:32
	s_waitcnt vmcnt(3)
	v_pk_fma_f16 v219, v223, v131, v219 op_sel_hi:[1,0,1]
	v_pk_fma_f16 v220, v224, v131, v220 op_sel_hi:[1,0,1]
	;; [unrolled: 1-line block ×4, first 2 shown]
	s_waitcnt vmcnt(0)
	v_pk_fma_f16 v235, v227, v129, v235 op_sel_hi:[1,0,1]
	v_pk_fma_f16 v236, v228, v129, v236 op_sel_hi:[1,0,1]
	;; [unrolled: 1-line block ×4, first 2 shown]
	s_clause 0x1
	scratch_store_b128 off, v[219:222], off offset:48
	scratch_store_b128 off, v[235:238], off offset:32
	s_clause 0x1
	scratch_load_b128 v[219:222], off, off offset:48
	scratch_load_b128 v[235:238], off, off offset:32
	s_clause 0x1
	global_load_b128 v[239:242], v[2:3], off offset:256
	global_load_b128 v[243:246], v[2:3], off offset:384
	s_waitcnt vmcnt(3)
	v_pk_fma_f16 v219, v231, v129, v219 op_sel_hi:[1,0,1]
	v_pk_fma_f16 v220, v232, v129, v220 op_sel_hi:[1,0,1]
	;; [unrolled: 1-line block ×4, first 2 shown]
	s_waitcnt vmcnt(1)
	v_pk_fma_f16 v235, v239, v132, v235 op_sel_hi:[1,0,1]
	v_pk_fma_f16 v236, v240, v132, v236 op_sel_hi:[1,0,1]
	;; [unrolled: 1-line block ×4, first 2 shown]
	s_clause 0x1
	scratch_store_b128 off, v[219:222], off offset:48
	scratch_store_b128 off, v[235:238], off offset:32
	s_clause 0x1
	scratch_load_b128 v[219:222], off, off offset:48
	scratch_load_b128 v[235:238], off, off offset:32
	s_waitcnt vmcnt(1)
	v_pk_fma_f16 v129, v243, v132, v219 op_sel_hi:[1,0,1]
	v_pk_fma_f16 v130, v244, v132, v220 op_sel_hi:[1,0,1]
	;; [unrolled: 1-line block ×4, first 2 shown]
	s_clause 0x1
	global_load_b128 v[219:222], v[14:15], off offset:256
	global_load_b128 v[247:250], v[14:15], off offset:384
	s_waitcnt vmcnt(1)
	v_pk_fma_f16 v235, v219, v133, v235 op_sel_hi:[1,0,1]
	v_pk_fma_f16 v236, v220, v133, v236 op_sel_hi:[1,0,1]
	;; [unrolled: 1-line block ×4, first 2 shown]
	s_clause 0x1
	scratch_store_b128 off, v[129:132], off offset:48
	scratch_store_b128 off, v[235:238], off offset:32
	s_clause 0x1
	scratch_load_b128 v[129:132], off, off offset:48
	scratch_load_b128 v[235:238], off, off offset:32
	s_clause 0x1
	global_load_b128 v[251:254], v[16:17], off offset:256
	global_load_b128 v[111:114], v[16:17], off offset:384
	s_waitcnt vmcnt(3)
	v_pk_fma_f16 v129, v247, v133, v129 op_sel_hi:[1,0,1]
	v_pk_fma_f16 v130, v248, v133, v130 op_sel_hi:[1,0,1]
	;; [unrolled: 1-line block ×4, first 2 shown]
	s_waitcnt vmcnt(1)
	v_pk_fma_f16 v235, v251, v97, v235 op_sel_hi:[1,0,1]
	v_pk_fma_f16 v236, v252, v97, v236 op_sel_hi:[1,0,1]
	;; [unrolled: 1-line block ×4, first 2 shown]
	s_clause 0x1
	scratch_store_b128 off, v[129:132], off offset:48
	scratch_store_b128 off, v[235:238], off offset:32
	s_clause 0x1
	scratch_load_b128 v[129:132], off, off offset:48
	scratch_load_b128 v[235:238], off, off offset:32
	s_clause 0x1
	global_load_b128 v[115:118], v[95:96], off offset:256
	global_load_b128 v[119:122], v[95:96], off offset:384
	s_waitcnt vmcnt(3)
	v_pk_fma_f16 v129, v111, v97, v129 op_sel_hi:[1,0,1]
	v_pk_fma_f16 v130, v112, v97, v130 op_sel_hi:[1,0,1]
	;; [unrolled: 1-line block ×4, first 2 shown]
	s_waitcnt vmcnt(1)
	v_pk_fma_f16 v235, v115, v98, v235 op_sel_hi:[1,0,1]
	v_pk_fma_f16 v236, v116, v98, v236 op_sel_hi:[1,0,1]
	;; [unrolled: 1-line block ×4, first 2 shown]
	s_clause 0x1
	scratch_store_b128 off, v[129:132], off offset:48
	scratch_store_b128 off, v[235:238], off offset:32
	s_clause 0x1
	scratch_load_b128 v[129:132], off, off offset:48
	scratch_load_b128 v[235:238], off, off offset:32
	s_waitcnt vmcnt(1)
	v_pk_fma_f16 v129, v119, v98, v129 op_sel_hi:[1,0,1]
	v_pk_fma_f16 v130, v120, v98, v130 op_sel_hi:[1,0,1]
	;; [unrolled: 1-line block ×4, first 2 shown]
	s_clause 0x1
	global_load_b128 v[95:98], v[99:100], off offset:256
	global_load_b128 v[107:110], v[99:100], off offset:384
	s_waitcnt vmcnt(1)
	v_pk_fma_f16 v235, v95, v101, v235 op_sel_hi:[1,0,1]
	v_pk_fma_f16 v236, v96, v101, v236 op_sel_hi:[1,0,1]
	;; [unrolled: 1-line block ×4, first 2 shown]
	s_clause 0x1
	scratch_store_b128 off, v[129:132], off offset:48
	scratch_store_b128 off, v[235:238], off offset:32
	s_clause 0x1
	scratch_load_b128 v[129:132], off, off offset:48
	scratch_load_b128 v[235:238], off, off offset:32
	s_waitcnt vmcnt(1)
	v_pk_fma_f16 v129, v107, v101, v129 op_sel_hi:[1,0,1]
	v_pk_fma_f16 v130, v108, v101, v130 op_sel_hi:[1,0,1]
	;; [unrolled: 1-line block ×4, first 2 shown]
	s_clause 0x1
	global_load_b128 v[99:102], v[123:124], off offset:256
	global_load_b128 v[14:17], v[123:124], off offset:384
	scratch_store_b128 off, v[129:132], off offset:48
	scratch_load_b128 v[129:132], off, off offset:48
	s_waitcnt vmcnt(2)
	v_pk_fma_f16 v235, v99, v255, v235 op_sel_hi:[1,0,1]
	v_pk_fma_f16 v236, v100, v255, v236 op_sel_hi:[1,0,1]
	;; [unrolled: 1-line block ×4, first 2 shown]
	s_waitcnt vmcnt(0)
	v_pk_fma_f16 v129, v14, v255, v129 op_sel_hi:[1,0,1]
	v_pk_fma_f16 v130, v15, v255, v130 op_sel_hi:[1,0,1]
	;; [unrolled: 1-line block ×4, first 2 shown]
	ds_load_u16 v123, v91 offset:256
	ds_load_u16 v124, v93 offset:16
	ds_load_u16 v255, v93 offset:24
	ds_load_u16 v88, v93 offset:40
	ds_load_u16 v104, v93 offset:48
	ds_load_u16 v6, v93 offset:56
	ds_load_u16 v94, v91 offset:288
	scratch_load_b128 v[0:3], off, off offset:64
	scratch_store_b128 off, v[150:153], off offset:92
	s_waitcnt lgkmcnt(6)
	v_pk_mul_f16 v4, v134, v123 op_sel_hi:[1,0]
	v_pk_mul_f16 v5, v135, v123 op_sel_hi:[1,0]
	;; [unrolled: 1-line block ×5, first 2 shown]
	s_delay_alu instid0(VALU_DEP_2) | instskip(NEXT) | instid1(VALU_DEP_4)
	v_pk_fma_f16 v142, v143, v123, v134 op_sel_hi:[1,0,1]
	v_pk_fma_f16 v143, v144, v123, v135 op_sel_hi:[1,0,1]
	s_waitcnt vmcnt(0)
	v_pk_fma_f16 v0, v22, v0, v4 op_sel_hi:[0,1,1]
	v_pk_mul_f16 v4, v136, v123 op_sel_hi:[1,0]
	v_pk_mul_f16 v136, v22, v149 op_sel_hi:[0,1]
	scratch_load_b128 v[148:151], off, off offset:112
	v_pk_mul_f16 v133, v22, v3 op_sel_hi:[0,1]
	v_pk_fma_f16 v1, v22, v1, v5 op_sel_hi:[0,1,1]
	v_pk_fma_f16 v2, v22, v2, v4 op_sel_hi:[0,1,1]
	s_delay_alu instid0(VALU_DEP_3)
	v_pk_fma_f16 v3, v137, v123, v133 op_sel_hi:[1,0,1]
	s_waitcnt vmcnt(0)
	v_pk_mul_f16 v148, v22, v148 op_sel_hi:[0,1]
	v_pk_mul_f16 v149, v22, v149 op_sel_hi:[0,1]
	;; [unrolled: 1-line block ×4, first 2 shown]
	s_clause 0x2
	scratch_store_b128 off, v[133:136], off offset:76
	scratch_store_b128 off, v[147:150], off offset:108
	;; [unrolled: 1-line block ×3, first 2 shown]
	s_clause 0x1
	scratch_load_b128 v[0:3], off, off offset:88
	scratch_load_b128 v[133:136], off, off offset:104
	s_waitcnt vmcnt(1)
	v_pk_fma_f16 v144, v145, v123, v0 op_sel_hi:[1,0,1]
	v_pk_fma_f16 v145, v146, v123, v1 op_sel_hi:[1,0,1]
	v_pk_fma_f16 v0, v138, v123, v2 op_sel_hi:[1,0,1]
	v_pk_fma_f16 v1, v139, v123, v3 op_sel_hi:[1,0,1]
	s_waitcnt vmcnt(0)
	v_pk_fma_f16 v2, v140, v123, v133 op_sel_hi:[1,0,1]
	v_pk_fma_f16 v3, v141, v123, v134 op_sel_hi:[1,0,1]
	;; [unrolled: 1-line block ×4, first 2 shown]
	scratch_store_b128 off, v[142:145], off offset:80
	ds_load_u16 v145, v93 offset:8
	s_clause 0x1
	scratch_load_b128 v[137:140], off, off offset:64
	scratch_load_b128 v[141:144], off, off offset:80
	scratch_store_b32 off, v4, off offset:124
	scratch_load_b64 v[4:5], off, off offset:120
	s_waitcnt vmcnt(2) lgkmcnt(0)
	v_pk_fma_f16 v137, v159, v145, v137 op_sel_hi:[1,0,1]
	v_pk_fma_f16 v138, v160, v145, v138 op_sel_hi:[1,0,1]
	;; [unrolled: 1-line block ×4, first 2 shown]
	s_waitcnt vmcnt(1)
	v_pk_fma_f16 v141, v163, v145, v141 op_sel_hi:[1,0,1]
	v_pk_fma_f16 v142, v164, v145, v142 op_sel_hi:[1,0,1]
	;; [unrolled: 1-line block ×4, first 2 shown]
	s_waitcnt vmcnt(0)
	v_pk_fma_f16 v135, v225, v123, v4 op_sel_hi:[1,0,1]
	v_pk_fma_f16 v136, v226, v123, v5 op_sel_hi:[1,0,1]
	s_clause 0x1
	scratch_store_b128 off, v[0:3], off offset:96
	scratch_store_b128 off, v[133:136], off offset:112
	s_clause 0x1
	scratch_load_b128 v[0:3], off, off offset:96
	scratch_load_b128 v[133:136], off, off offset:112
	s_clause 0x1
	scratch_store_b128 off, v[137:140], off offset:64
	scratch_store_b128 off, v[141:144], off offset:80
	s_clause 0x1
	scratch_load_b128 v[137:140], off, off offset:64
	scratch_load_b128 v[141:144], off, off offset:80
	s_waitcnt vmcnt(3)
	v_pk_fma_f16 v0, v227, v145, v0 op_sel_hi:[1,0,1]
	v_pk_fma_f16 v1, v228, v145, v1 op_sel_hi:[1,0,1]
	v_pk_fma_f16 v2, v229, v145, v2 op_sel_hi:[1,0,1]
	v_pk_fma_f16 v3, v230, v145, v3 op_sel_hi:[1,0,1]
	s_waitcnt vmcnt(2)
	v_pk_fma_f16 v133, v231, v145, v133 op_sel_hi:[1,0,1]
	v_pk_fma_f16 v134, v232, v145, v134 op_sel_hi:[1,0,1]
	v_pk_fma_f16 v135, v233, v145, v135 op_sel_hi:[1,0,1]
	v_pk_fma_f16 v136, v234, v145, v136 op_sel_hi:[1,0,1]
	s_waitcnt vmcnt(1)
	v_pk_fma_f16 v137, v167, v124, v137 op_sel_hi:[1,0,1]
	v_pk_fma_f16 v138, v168, v124, v138 op_sel_hi:[1,0,1]
	v_pk_fma_f16 v139, v169, v124, v139 op_sel_hi:[1,0,1]
	v_pk_fma_f16 v140, v170, v124, v140 op_sel_hi:[1,0,1]
	s_waitcnt vmcnt(0)
	v_pk_fma_f16 v141, v171, v124, v141 op_sel_hi:[1,0,1]
	v_pk_fma_f16 v142, v172, v124, v142 op_sel_hi:[1,0,1]
	v_pk_fma_f16 v143, v173, v124, v143 op_sel_hi:[1,0,1]
	v_pk_fma_f16 v144, v174, v124, v144 op_sel_hi:[1,0,1]
	s_clause 0x1
	scratch_store_b128 off, v[0:3], off offset:96
	scratch_store_b128 off, v[133:136], off offset:112
	s_clause 0x1
	scratch_load_b128 v[0:3], off, off offset:96
	scratch_load_b128 v[133:136], off, off offset:112
	s_clause 0x1
	scratch_store_b128 off, v[137:140], off offset:64
	scratch_store_b128 off, v[141:144], off offset:80
	s_clause 0x1
	scratch_load_b128 v[137:140], off, off offset:64
	scratch_load_b128 v[141:144], off, off offset:80
	s_waitcnt vmcnt(3)
	v_pk_fma_f16 v0, v239, v124, v0 op_sel_hi:[1,0,1]
	v_pk_fma_f16 v1, v240, v124, v1 op_sel_hi:[1,0,1]
	v_pk_fma_f16 v2, v241, v124, v2 op_sel_hi:[1,0,1]
	v_pk_fma_f16 v3, v242, v124, v3 op_sel_hi:[1,0,1]
	s_waitcnt vmcnt(2)
	v_pk_fma_f16 v133, v243, v124, v133 op_sel_hi:[1,0,1]
	v_pk_fma_f16 v134, v244, v124, v134 op_sel_hi:[1,0,1]
	v_pk_fma_f16 v135, v245, v124, v135 op_sel_hi:[1,0,1]
	v_pk_fma_f16 v136, v246, v124, v136 op_sel_hi:[1,0,1]
	s_waitcnt vmcnt(1)
	v_pk_fma_f16 v137, v175, v255, v137 op_sel_hi:[1,0,1]
	v_pk_fma_f16 v138, v176, v255, v138 op_sel_hi:[1,0,1]
	v_pk_fma_f16 v139, v177, v255, v139 op_sel_hi:[1,0,1]
	v_pk_fma_f16 v140, v178, v255, v140 op_sel_hi:[1,0,1]
	s_waitcnt vmcnt(0)
	v_pk_fma_f16 v141, v179, v255, v141 op_sel_hi:[1,0,1]
	v_pk_fma_f16 v142, v180, v255, v142 op_sel_hi:[1,0,1]
	;; [unrolled: 32-line block ×3, first 2 shown]
	v_pk_fma_f16 v143, v189, v94, v143 op_sel_hi:[1,0,1]
	v_pk_fma_f16 v144, v190, v94, v144 op_sel_hi:[1,0,1]
	s_clause 0x1
	scratch_store_b128 off, v[0:3], off offset:96
	scratch_store_b128 off, v[133:136], off offset:112
	s_clause 0x1
	scratch_load_b128 v[0:3], off, off offset:96
	scratch_load_b128 v[133:136], off, off offset:112
	s_clause 0x1
	scratch_store_b128 off, v[137:140], off offset:64
	scratch_store_b128 off, v[141:144], off offset:80
	s_waitcnt vmcnt(1)
	v_pk_fma_f16 v0, v251, v94, v0 op_sel_hi:[1,0,1]
	v_pk_fma_f16 v1, v252, v94, v1 op_sel_hi:[1,0,1]
	;; [unrolled: 1-line block ×4, first 2 shown]
	s_waitcnt vmcnt(0)
	v_pk_fma_f16 v111, v111, v94, v133 op_sel_hi:[1,0,1]
	v_pk_fma_f16 v112, v112, v94, v134 op_sel_hi:[1,0,1]
	;; [unrolled: 1-line block ×4, first 2 shown]
	s_clause 0x1
	scratch_load_b128 v[133:136], off, off offset:64
	scratch_load_b128 v[137:140], off, off offset:80
	s_clause 0x1
	scratch_store_b128 off, v[0:3], off offset:96
	scratch_store_b128 off, v[111:114], off offset:112
	s_clause 0x1
	scratch_load_b128 v[0:3], off, off offset:96
	scratch_load_b128 v[111:114], off, off offset:112
	s_waitcnt vmcnt(3)
	v_pk_fma_f16 v133, v191, v88, v133 op_sel_hi:[1,0,1]
	v_pk_fma_f16 v134, v192, v88, v134 op_sel_hi:[1,0,1]
	v_pk_fma_f16 v135, v193, v88, v135 op_sel_hi:[1,0,1]
	v_pk_fma_f16 v136, v194, v88, v136 op_sel_hi:[1,0,1]
	s_waitcnt vmcnt(2)
	v_pk_fma_f16 v137, v195, v88, v137 op_sel_hi:[1,0,1]
	v_pk_fma_f16 v138, v196, v88, v138 op_sel_hi:[1,0,1]
	v_pk_fma_f16 v139, v197, v88, v139 op_sel_hi:[1,0,1]
	v_pk_fma_f16 v140, v198, v88, v140 op_sel_hi:[1,0,1]
	;; [unrolled: 5-line block ×3, first 2 shown]
	s_clause 0x1
	scratch_store_b128 off, v[133:136], off offset:64
	scratch_store_b128 off, v[137:140], off offset:80
	s_waitcnt vmcnt(0)
	v_pk_fma_f16 v111, v119, v88, v111 op_sel_hi:[1,0,1]
	v_pk_fma_f16 v112, v120, v88, v112 op_sel_hi:[1,0,1]
	;; [unrolled: 1-line block ×4, first 2 shown]
	s_clause 0x1
	scratch_load_b128 v[115:118], off, off offset:64
	scratch_load_b128 v[119:122], off, off offset:80
	s_clause 0x1
	scratch_store_b128 off, v[0:3], off offset:96
	scratch_store_b128 off, v[111:114], off offset:112
	s_clause 0x1
	scratch_load_b128 v[0:3], off, off offset:96
	scratch_load_b128 v[111:114], off, off offset:112
	s_waitcnt vmcnt(3)
	v_pk_fma_f16 v115, v199, v104, v115 op_sel_hi:[1,0,1]
	v_pk_fma_f16 v116, v200, v104, v116 op_sel_hi:[1,0,1]
	v_pk_fma_f16 v117, v201, v104, v117 op_sel_hi:[1,0,1]
	v_pk_fma_f16 v118, v202, v104, v118 op_sel_hi:[1,0,1]
	s_waitcnt vmcnt(2)
	v_pk_fma_f16 v119, v203, v104, v119 op_sel_hi:[1,0,1]
	v_pk_fma_f16 v120, v204, v104, v120 op_sel_hi:[1,0,1]
	v_pk_fma_f16 v121, v205, v104, v121 op_sel_hi:[1,0,1]
	v_pk_fma_f16 v122, v206, v104, v122 op_sel_hi:[1,0,1]
	;; [unrolled: 5-line block ×3, first 2 shown]
	s_clause 0x1
	scratch_store_b128 off, v[115:118], off offset:64
	scratch_store_b128 off, v[119:122], off offset:80
	s_waitcnt vmcnt(0)
	v_pk_fma_f16 v95, v107, v104, v111 op_sel_hi:[1,0,1]
	v_pk_fma_f16 v96, v108, v104, v112 op_sel_hi:[1,0,1]
	;; [unrolled: 1-line block ×4, first 2 shown]
	s_clause 0x1
	scratch_load_b128 v[107:110], off, off offset:64
	scratch_load_b128 v[111:114], off, off offset:80
	s_clause 0x1
	scratch_store_b128 off, v[0:3], off offset:96
	scratch_store_b128 off, v[95:98], off offset:112
	s_clause 0x1
	scratch_load_b128 v[0:3], off, off offset:96
	scratch_load_b128 v[95:98], off, off offset:112
	s_clause 0x3
	scratch_store_b128 off, v[155:158], off
	scratch_store_b128 off, v[215:218], off offset:16
	scratch_store_b128 off, v[235:238], off offset:32
	;; [unrolled: 1-line block ×3, first 2 shown]
	s_waitcnt vmcnt(3)
	v_pk_fma_f16 v107, v207, v6, v107 op_sel_hi:[1,0,1]
	v_pk_fma_f16 v108, v208, v6, v108 op_sel_hi:[1,0,1]
	v_pk_fma_f16 v109, v209, v6, v109 op_sel_hi:[1,0,1]
	v_pk_fma_f16 v110, v210, v6, v110 op_sel_hi:[1,0,1]
	s_waitcnt vmcnt(2)
	v_pk_fma_f16 v111, v211, v6, v111 op_sel_hi:[1,0,1]
	v_pk_fma_f16 v112, v212, v6, v112 op_sel_hi:[1,0,1]
	v_pk_fma_f16 v113, v213, v6, v113 op_sel_hi:[1,0,1]
	v_pk_fma_f16 v114, v214, v6, v114 op_sel_hi:[1,0,1]
	;; [unrolled: 5-line block ×4, first 2 shown]
	s_clause 0x3
	scratch_store_b128 off, v[107:110], off offset:64
	scratch_store_b128 off, v[111:114], off offset:80
	;; [unrolled: 1-line block ×4, first 2 shown]
	s_cbranch_scc1 .LBB28_56
; %bb.55:                               ;   in Loop: Header=BB28_22 Depth=1
	v_dual_mov_b32 v4, v12 :: v_dual_mov_b32 v127, v13
	s_branch .LBB28_22
.LBB28_56:
	s_clause 0x5
	scratch_load_b32 v78, off, off offset:240
	scratch_load_b32 v79, off, off offset:244
	;; [unrolled: 1-line block ×6, first 2 shown]
	v_mbcnt_lo_u32_b32 v91, -1, 0
.LBB28_57:
	s_cmp_lg_u64 s[24:25], 0
	s_waitcnt vmcnt(2)
	v_cmp_gt_u32_e32 vcc_lo, 2, v81
	s_cselect_b32 s2, -1, 0
	s_cmp_eq_u32 s14, 0
	s_cselect_b32 s3, -1, 0
	s_delay_alu instid0(SALU_CYCLE_1) | instskip(NEXT) | instid1(SALU_CYCLE_1)
	s_and_b32 s2, s3, s2
	s_and_b32 s2, vcc_lo, s2
	s_delay_alu instid0(SALU_CYCLE_1)
	s_and_saveexec_b32 s3, s2
	s_cbranch_execz .LBB28_59
; %bb.58:
	v_cmp_eq_u32_e32 vcc_lo, 1, v81
	s_ashr_i32 s13, s12, 31
	s_delay_alu instid0(SALU_CYCLE_1) | instskip(NEXT) | instid1(SALU_CYCLE_1)
	s_lshl_b64 s[4:5], s[12:13], 2
	s_add_u32 s4, s24, s4
	v_cndmask_b32_e32 v9, v12, v13, vcc_lo
	s_addc_u32 s5, s25, s5
	s_delay_alu instid0(VALU_DEP_1)
	v_max_f32_e32 v23, v9, v9
	s_waitcnt vmcnt(0)
	v_lshlrev_b32_e32 v8, 6, v81
	s_clause 0x3
	scratch_load_b128 v[0:3], v8, off
	scratch_load_b128 v[4:7], v8, off offset:16
	scratch_load_b128 v[14:17], v8, off offset:32
	;; [unrolled: 1-line block ×3, first 2 shown]
	s_load_b32 s2, s[4:5], 0x0
	s_waitcnt lgkmcnt(0)
	v_max_f32_e64 v24, s2, s2
	s_delay_alu instid0(VALU_DEP_1) | instskip(NEXT) | instid1(VALU_DEP_1)
	v_max_f32_e32 v23, v24, v23
	v_sub_f32_e32 v24, s2, v23
	v_sub_f32_e32 v9, v9, v23
	v_cndmask_b32_e32 v13, v13, v23, vcc_lo
	s_delay_alu instid0(VALU_DEP_2) | instskip(SKIP_1) | instid1(VALU_DEP_2)
	v_dual_mul_f32 v25, 0x3fb8aa3b, v24 :: v_dual_mul_f32 v26, 0x3fb8aa3b, v9
	v_cmp_ngt_f32_e64 s2, 0xc2ce8ed0, v24
	v_fma_f32 v27, 0x3fb8aa3b, v24, -v25
	v_rndne_f32_e32 v28, v25
	s_delay_alu instid0(VALU_DEP_4) | instskip(SKIP_1) | instid1(VALU_DEP_4)
	v_fma_f32 v29, 0x3fb8aa3b, v9, -v26
	v_rndne_f32_e32 v30, v26
	v_fmac_f32_e32 v27, 0x32a5705f, v24
	s_delay_alu instid0(VALU_DEP_4) | instskip(NEXT) | instid1(VALU_DEP_3)
	v_sub_f32_e32 v25, v25, v28
	v_dual_fmac_f32 v29, 0x32a5705f, v9 :: v_dual_sub_f32 v26, v26, v30
	s_delay_alu instid0(VALU_DEP_2) | instskip(SKIP_1) | instid1(VALU_DEP_3)
	v_add_f32_e32 v25, v25, v27
	v_cvt_i32_f32_e32 v27, v28
	v_add_f32_e32 v26, v26, v29
	v_cvt_i32_f32_e32 v28, v30
	s_delay_alu instid0(VALU_DEP_4) | instskip(NEXT) | instid1(VALU_DEP_2)
	v_exp_f32_e32 v25, v25
	v_exp_f32_e32 v26, v26
	s_waitcnt_depctr 0xfff
	v_ldexp_f32 v25, v25, v27
	v_ldexp_f32 v26, v26, v28
	s_delay_alu instid0(VALU_DEP_2) | instskip(SKIP_1) | instid1(VALU_DEP_1)
	v_cndmask_b32_e64 v25, 0, v25, s2
	v_cmp_ngt_f32_e64 s2, 0xc2ce8ed0, v9
	v_cndmask_b32_e64 v26, 0, v26, s2
	v_cmp_nlt_f32_e64 s2, 0x42b17218, v24
	s_delay_alu instid0(VALU_DEP_1) | instskip(SKIP_2) | instid1(VALU_DEP_2)
	v_cndmask_b32_e64 v24, 0x7f800000, v25, s2
	v_cmp_nlt_f32_e64 s2, 0x42b17218, v9
	v_cndmask_b32_e32 v25, v10, v11, vcc_lo
	v_cndmask_b32_e64 v9, 0x7f800000, v26, s2
	v_cmp_eq_u32_e64 s2, 0, v78
	s_delay_alu instid0(VALU_DEP_1) | instskip(SKIP_1) | instid1(VALU_DEP_2)
	v_cndmask_b32_e64 v24, 0, v24, s2
	v_cmp_eq_u32_e64 s2, 0, v81
	v_fmac_f32_e32 v24, v25, v9
	v_cvt_f16_f32_e32 v9, v9
	s_delay_alu instid0(VALU_DEP_3) | instskip(NEXT) | instid1(VALU_DEP_3)
	v_cndmask_b32_e64 v12, v12, v23, s2
	v_cndmask_b32_e32 v11, v11, v24, vcc_lo
	v_cndmask_b32_e64 v10, v10, v24, s2
	s_waitcnt vmcnt(3)
	v_pk_mul_f16 v0, v9, v0 op_sel_hi:[0,1]
	v_pk_mul_f16 v1, v9, v1 op_sel_hi:[0,1]
	v_pk_mul_f16 v2, v9, v2 op_sel_hi:[0,1]
	v_pk_mul_f16 v3, v9, v3 op_sel_hi:[0,1]
	s_waitcnt vmcnt(2)
	v_pk_mul_f16 v4, v9, v4 op_sel_hi:[0,1]
	v_pk_mul_f16 v5, v9, v5 op_sel_hi:[0,1]
	v_pk_mul_f16 v6, v9, v6 op_sel_hi:[0,1]
	v_pk_mul_f16 v7, v9, v7 op_sel_hi:[0,1]
	;; [unrolled: 5-line block ×4, first 2 shown]
	s_clause 0x3
	scratch_store_b128 v8, v[0:3], off
	scratch_store_b128 v8, v[4:7], off offset:16
	scratch_store_b128 v8, v[14:17], off offset:32
	;; [unrolled: 1-line block ×3, first 2 shown]
.LBB28_59:
	s_or_b32 exec_lo, exec_lo, s3
	s_delay_alu instid0(SALU_CYCLE_1)
	s_mov_b32 s2, exec_lo
	v_cmpx_eq_u32_e32 0, v81
	s_cbranch_execz .LBB28_61
; %bb.60:
	v_mov_b32_e32 v0, 0xfeffffff
	s_waitcnt vmcnt(1)
	v_dual_mov_b32 v2, 0 :: v_dual_add_nc_u32 v1, 0x2000, v79
	ds_store_2addr_b32 v1, v0, v0 offset1:32
	ds_store_2addr_b32 v1, v2, v2 offset0:64 offset1:96
.LBB28_61:
	s_or_b32 exec_lo, exec_lo, s2
	v_cmp_eq_u32_e64 s2, 0, v78
	s_waitcnt vmcnt(0) lgkmcnt(0)
	s_waitcnt_vscnt null, 0x0
	s_barrier
	buffer_gl0_inv
	s_and_saveexec_b32 s3, s2
	s_cbranch_execz .LBB28_63
; %bb.62:
	v_lshlrev_b32_e32 v0, 2, v81
	s_delay_alu instid0(VALU_DEP_1)
	v_add_nc_u32_e32 v0, 0x2000, v0
	ds_store_2addr_b32 v0, v12, v13 offset1:32
.LBB28_63:
	s_or_b32 exec_lo, exec_lo, s3
	s_delay_alu instid0(SALU_CYCLE_1)
	s_and_not1_b32 vcc_lo, exec_lo, s37
	s_waitcnt lgkmcnt(0)
	s_barrier
	buffer_gl0_inv
	s_cbranch_vccnz .LBB28_65
; %bb.64:
	s_add_u32 s4, s0, 0xd0
	s_addc_u32 s5, s1, 0
	s_cbranch_execz .LBB28_66
	s_branch .LBB28_73
.LBB28_65:
                                        ; implicit-def: $sgpr4_sgpr5
.LBB28_66:
	ds_load_b32 v0, v79 offset:8192
	v_xor_b32_e32 v1, 16, v91
	s_clause 0x3
	scratch_load_b128 v[14:17], off, off
	scratch_load_b128 v[19:22], off, off offset:16
	scratch_load_b128 v[23:26], off, off offset:32
	;; [unrolled: 1-line block ×3, first 2 shown]
	v_xor_b32_e32 v2, 8, v91
	v_cmp_gt_i32_e32 vcc_lo, 32, v1
	s_load_b32 s3, s[0:1], 0xd4
	s_add_u32 s4, s0, 0xd0
	s_addc_u32 s5, s1, 0
	v_cndmask_b32_e32 v1, v91, v1, vcc_lo
	v_cmp_gt_i32_e32 vcc_lo, 32, v2
	s_delay_alu instid0(VALU_DEP_2)
	v_lshlrev_b32_e32 v6, 2, v1
	s_waitcnt lgkmcnt(0)
	ds_bpermute_b32 v1, v6, v0
	v_cndmask_b32_e32 v2, v91, v2, vcc_lo
	s_waitcnt lgkmcnt(0)
	v_dual_max_f32 v0, v0, v0 :: v_dual_max_f32 v1, v1, v1
	s_delay_alu instid0(VALU_DEP_2) | instskip(SKIP_1) | instid1(VALU_DEP_3)
	v_lshlrev_b32_e32 v5, 2, v2
	v_xor_b32_e32 v2, 4, v91
	v_max_f32_e32 v0, v0, v1
	s_delay_alu instid0(VALU_DEP_2) | instskip(SKIP_3) | instid1(VALU_DEP_1)
	v_cmp_gt_i32_e32 vcc_lo, 32, v2
	ds_bpermute_b32 v1, v5, v0
	s_waitcnt lgkmcnt(0)
	v_dual_cndmask_b32 v2, v91, v2 :: v_dual_max_f32 v1, v1, v1
	v_lshlrev_b32_e32 v4, 2, v2
	v_xor_b32_e32 v2, 2, v91
	s_delay_alu instid0(VALU_DEP_1) | instskip(SKIP_1) | instid1(VALU_DEP_1)
	v_cmp_gt_i32_e32 vcc_lo, 32, v2
	v_cndmask_b32_e32 v2, v91, v2, vcc_lo
	v_dual_max_f32 v0, v0, v1 :: v_dual_lshlrev_b32 v3, 2, v2
	ds_bpermute_b32 v1, v4, v0
	v_xor_b32_e32 v2, 1, v91
	s_delay_alu instid0(VALU_DEP_1) | instskip(SKIP_2) | instid1(VALU_DEP_1)
	v_cmp_gt_i32_e32 vcc_lo, 32, v2
	v_cndmask_b32_e32 v2, v91, v2, vcc_lo
	s_waitcnt lgkmcnt(0)
	v_dual_max_f32 v1, v1, v1 :: v_dual_lshlrev_b32 v2, 2, v2
	s_delay_alu instid0(VALU_DEP_1) | instskip(SKIP_3) | instid1(VALU_DEP_1)
	v_max_f32_e32 v0, v0, v1
	ds_bpermute_b32 v1, v3, v0
	s_waitcnt lgkmcnt(0)
	v_max_f32_e32 v1, v1, v1
	v_max_f32_e32 v0, v0, v1
	ds_bpermute_b32 v1, v2, v0
	s_waitcnt lgkmcnt(0)
	v_max_f32_e32 v1, v1, v1
	s_delay_alu instid0(VALU_DEP_1) | instskip(NEXT) | instid1(VALU_DEP_1)
	v_max_f32_e32 v0, v0, v1
	v_sub_f32_e32 v1, v12, v0
	s_delay_alu instid0(VALU_DEP_1) | instskip(SKIP_1) | instid1(VALU_DEP_2)
	v_mul_f32_e32 v7, 0x3fb8aa3b, v1
	v_cmp_ngt_f32_e32 vcc_lo, 0xc2ce8ed0, v1
	v_fma_f32 v8, 0x3fb8aa3b, v1, -v7
	v_rndne_f32_e32 v9, v7
	s_delay_alu instid0(VALU_DEP_1) | instskip(NEXT) | instid1(VALU_DEP_1)
	v_dual_fmamk_f32 v8, v1, 0x32a5705f, v8 :: v_dual_sub_f32 v7, v7, v9
	v_add_f32_e32 v7, v7, v8
	v_cvt_i32_f32_e32 v8, v9
	v_lshlrev_b32_e32 v9, 6, v78
	s_delay_alu instid0(VALU_DEP_3) | instskip(NEXT) | instid1(VALU_DEP_1)
	v_exp_f32_e32 v7, v7
	v_and_b32_e32 v9, 0x1e00, v9
	s_delay_alu instid0(VALU_DEP_1) | instskip(SKIP_2) | instid1(VALU_DEP_1)
	v_lshl_add_u32 v9, v81, 11, v9
	s_waitcnt_depctr 0xfff
	v_ldexp_f32 v7, v7, v8
	v_cndmask_b32_e32 v7, 0, v7, vcc_lo
	v_cmp_nlt_f32_e32 vcc_lo, 0x42b17218, v1
	s_delay_alu instid0(VALU_DEP_2) | instskip(NEXT) | instid1(VALU_DEP_1)
	v_cndmask_b32_e32 v1, 0x7f800000, v7, vcc_lo
	v_mul_f32_e32 v7, v10, v1
	ds_bpermute_b32 v7, v6, v7
	s_waitcnt lgkmcnt(0)
	v_fmac_f32_e32 v7, v10, v1
	v_cvt_f16_f32_e32 v10, v1
	ds_bpermute_b32 v8, v5, v7
	s_waitcnt lgkmcnt(0)
	v_add_f32_e32 v7, v7, v8
	ds_bpermute_b32 v8, v4, v7
	s_waitcnt lgkmcnt(0)
	v_add_f32_e32 v7, v7, v8
	ds_bpermute_b32 v8, v3, v7
	s_waitcnt vmcnt(2)
	v_pk_mul_f16 v19, v10, v19 op_sel_hi:[0,1]
	v_pk_mul_f16 v14, v10, v14 op_sel_hi:[0,1]
	v_pk_mul_f16 v15, v10, v15 op_sel_hi:[0,1]
	v_pk_mul_f16 v16, v10, v16 op_sel_hi:[0,1]
	v_pk_mul_f16 v17, v10, v17 op_sel_hi:[0,1]
	v_pk_mul_f16 v20, v10, v20 op_sel_hi:[0,1]
	v_pk_mul_f16 v21, v10, v21 op_sel_hi:[0,1]
	v_pk_mul_f16 v22, v10, v22 op_sel_hi:[0,1]
	s_waitcnt vmcnt(1)
	v_pk_mul_f16 v23, v10, v23 op_sel_hi:[0,1]
	s_waitcnt lgkmcnt(0)
	v_add_f32_e32 v1, v7, v8
	v_lshl_or_b32 v7, v88, 2, v9
	v_pk_mul_f16 v24, v10, v24 op_sel_hi:[0,1]
	v_pk_mul_f16 v25, v10, v25 op_sel_hi:[0,1]
	v_pk_mul_f16 v26, v10, v26 op_sel_hi:[0,1]
	ds_bpermute_b32 v8, v2, v1
	s_waitcnt vmcnt(0)
	v_pk_mul_f16 v27, v10, v27 op_sel_hi:[0,1]
	v_pk_mul_f16 v28, v10, v28 op_sel_hi:[0,1]
	;; [unrolled: 1-line block ×4, first 2 shown]
	s_clause 0x3
	scratch_store_b128 off, v[14:17], off
	scratch_store_b128 off, v[19:22], off offset:16
	scratch_store_b128 off, v[23:26], off offset:32
	;; [unrolled: 1-line block ×3, first 2 shown]
	ds_store_b128 v7, v[14:17]
	ds_store_b128 v7, v[19:22] offset:128
	ds_store_b128 v7, v[23:26] offset:256
	;; [unrolled: 1-line block ×3, first 2 shown]
	s_and_saveexec_b32 s0, s2
	s_cbranch_execz .LBB28_68
; %bb.67:
	s_waitcnt lgkmcnt(4)
	v_dual_add_f32 v1, v1, v8 :: v_dual_lshlrev_b32 v8, 2, v81
	ds_store_b32 v8, v1 offset:8448
.LBB28_68:
	s_or_b32 exec_lo, exec_lo, s0
	s_waitcnt lgkmcnt(0)
	s_waitcnt_vscnt null, 0x0
	s_barrier
	buffer_gl0_inv
	ds_load_b32 v1, v79 offset:8448
	ds_load_u16 v8, v18
	ds_load_u16 v9, v18 offset:1280
	ds_load_u16 v10, v18 offset:768
	;; [unrolled: 1-line block ×3, first 2 shown]
	s_cmp_eq_u32 s3, 1
	s_mul_i32 s6, s33, s34
	s_cselect_b32 s0, -1, 0
	s_add_i32 s6, s6, s15
	s_delay_alu instid0(SALU_CYCLE_1) | instskip(NEXT) | instid1(SALU_CYCLE_1)
	s_mul_i32 s6, s6, s35
	s_add_i32 s6, s6, s12
	s_delay_alu instid0(SALU_CYCLE_1) | instskip(NEXT) | instid1(SALU_CYCLE_1)
	s_mul_i32 s7, s3, s6
	s_add_i32 s7, s7, s14
	s_waitcnt lgkmcnt(4)
	ds_bpermute_b32 v14, v6, v1
	s_waitcnt lgkmcnt(4)
	v_cvt_f32_f16_e32 v8, v8
	s_waitcnt lgkmcnt(3)
	v_cvt_f32_f16_e32 v9, v9
	;; [unrolled: 2-line block ×4, first 2 shown]
	v_add_f32_e32 v8, 0, v8
	s_waitcnt lgkmcnt(0)
	s_delay_alu instid0(VALU_DEP_2)
	v_dual_add_f32 v12, 0, v12 :: v_dual_add_f32 v1, v1, v14
	ds_load_u16 v14, v18 offset:512
	ds_load_u16 v16, v18 offset:1024
	;; [unrolled: 1-line block ×16, first 2 shown]
	ds_bpermute_b32 v15, v5, v1
	s_waitcnt lgkmcnt(14)
	v_cvt_f32_f16_e32 v17, v17
	s_waitcnt lgkmcnt(13)
	v_cvt_f32_f16_e32 v19, v19
	;; [unrolled: 2-line block ×3, first 2 shown]
	v_cvt_f32_f16_e32 v14, v14
	s_waitcnt lgkmcnt(7)
	v_cvt_f32_f16_e32 v25, v25
	s_waitcnt lgkmcnt(0)
	s_delay_alu instid0(VALU_DEP_2)
	v_dual_add_f32 v1, v1, v15 :: v_dual_add_f32 v8, v8, v14
	v_cvt_f32_f16_e32 v15, v16
	ds_load_u16 v14, v18 offset:4608
	ds_load_u16 v16, v18 offset:4352
	ds_bpermute_b32 v32, v4, v1
	v_add_f32_e32 v8, v8, v15
	ds_load_u16 v15, v18 offset:4096
	ds_load_u16 v33, v18 offset:3840
	s_waitcnt lgkmcnt(2)
	v_dual_add_f32 v1, v1, v32 :: v_dual_add_f32 v10, v12, v10
	v_cvt_f32_f16_e32 v12, v23
	v_cvt_f32_f16_e32 v23, v27
	s_waitcnt lgkmcnt(1)
	v_cvt_f32_f16_e32 v15, v15
	v_add_f32_e32 v9, v10, v9
	v_add_f32_e32 v8, v8, v17
	v_cvt_f32_f16_e32 v10, v21
	v_cvt_f32_f16_e32 v21, v26
	ds_load_u16 v17, v18 offset:7680
	ds_load_u16 v34, v18 offset:7424
	v_add_f32_e32 v9, v9, v23
	v_add_f32_e32 v8, v8, v19
	s_waitcnt lgkmcnt(2)
	v_cvt_f32_f16_e32 v23, v33
	ds_load_u16 v19, v18 offset:7168
	ds_load_u16 v35, v18 offset:6912
	v_add_f32_e32 v9, v9, v21
	v_add_f32_e32 v8, v8, v25
	ds_load_u16 v21, v18 offset:6656
	v_add_f32_e32 v8, v8, v12
	ds_bpermute_b32 v12, v3, v1
	v_add_f32_e32 v8, v8, v10
	v_cvt_f32_f16_e32 v10, v14
	v_cvt_f32_f16_e32 v14, v24
	s_waitcnt lgkmcnt(3)
	v_cvt_f32_f16_e32 v19, v19
	s_delay_alu instid0(VALU_DEP_2) | instskip(SKIP_1) | instid1(VALU_DEP_2)
	v_add_f32_e32 v9, v9, v14
	v_cvt_f32_f16_e32 v14, v30
	v_add_f32_e32 v9, v9, v22
	v_cvt_f32_f16_e32 v22, v28
	s_waitcnt lgkmcnt(0)
	v_add_f32_e32 v1, v1, v12
	s_delay_alu instid0(VALU_DEP_3)
	v_add_f32_e32 v9, v9, v23
	v_cvt_f32_f16_e32 v12, v16
	v_add_f32_e32 v8, v8, v15
	ds_load_u16 v15, v18 offset:6400
	ds_bpermute_b32 v16, v2, v1
	v_dual_add_f32 v9, v9, v12 :: v_dual_add_f32 v8, v8, v10
	ds_load_u16 v10, v18 offset:5888
	v_cvt_f32_f16_e32 v12, v21
	v_add_f32_e32 v8, v8, v14
	v_cvt_f32_f16_e32 v14, v20
	v_cvt_f32_f16_e32 v20, v31
	s_delay_alu instid0(VALU_DEP_1) | instskip(NEXT) | instid1(VALU_DEP_1)
	v_dual_add_f32 v8, v8, v22 :: v_dual_add_f32 v9, v9, v20
	v_add_f32_e32 v8, v8, v14
	v_cvt_f32_f16_e32 v14, v29
	s_waitcnt lgkmcnt(2)
	v_cvt_f32_f16_e32 v15, v15
	s_delay_alu instid0(VALU_DEP_2) | instskip(SKIP_4) | instid1(VALU_DEP_2)
	v_dual_add_f32 v8, v8, v12 :: v_dual_add_f32 v9, v9, v14
	ds_load_u16 v12, v18 offset:7936
	s_waitcnt lgkmcnt(1)
	v_cvt_f32_f16_e32 v10, v10
	v_cvt_f32_f16_e32 v14, v17
	v_dual_add_f32 v8, v8, v19 :: v_dual_add_f32 v9, v9, v10
	s_delay_alu instid0(VALU_DEP_1) | instskip(NEXT) | instid1(VALU_DEP_2)
	v_add_f32_e32 v14, v8, v14
	v_add_f32_e32 v8, v9, v15
	;; [unrolled: 1-line block ×3, first 2 shown]
	v_cvt_f32_f16_e32 v1, v35
	v_cvt_f32_f16_e32 v15, v34
	s_delay_alu instid0(VALU_DEP_2) | instskip(NEXT) | instid1(VALU_DEP_4)
	v_add_f32_e32 v1, v8, v1
	v_div_scale_f32 v9, null, v10, v10, v14
	s_waitcnt lgkmcnt(0)
	v_cvt_f32_f16_e32 v12, v12
	v_div_scale_f32 v16, vcc_lo, v14, v10, v14
	s_delay_alu instid0(VALU_DEP_3) | instskip(SKIP_1) | instid1(VALU_DEP_1)
	v_rcp_f32_e32 v8, v9
	v_add_f32_e32 v1, v1, v15
	v_add_f32_e32 v1, v1, v12
	s_waitcnt_depctr 0xfff
	v_fma_f32 v12, -v9, v8, 1.0
	v_div_scale_f32 v15, null, v10, v10, v1
	s_delay_alu instid0(VALU_DEP_2) | instskip(NEXT) | instid1(VALU_DEP_2)
	v_fmac_f32_e32 v8, v12, v8
	v_rcp_f32_e32 v12, v15
	s_delay_alu instid0(VALU_DEP_1) | instskip(NEXT) | instid1(VALU_DEP_1)
	v_mul_f32_e32 v17, v16, v8
	v_fma_f32 v19, -v9, v17, v16
	s_waitcnt_depctr 0xfff
	v_fma_f32 v20, -v15, v12, 1.0
	v_fmac_f32_e32 v17, v19, v8
	v_div_scale_f32 v19, s1, v1, v10, v1
	s_delay_alu instid0(VALU_DEP_3) | instskip(NEXT) | instid1(VALU_DEP_3)
	v_fmac_f32_e32 v12, v20, v12
	v_fma_f32 v9, -v9, v17, v16
	s_delay_alu instid0(VALU_DEP_2) | instskip(NEXT) | instid1(VALU_DEP_2)
	v_mul_f32_e32 v16, v19, v12
	v_div_fmas_f32 v8, v9, v8, v17
	s_mov_b32 vcc_lo, s1
	s_delay_alu instid0(VALU_DEP_2) | instskip(NEXT) | instid1(VALU_DEP_2)
	v_fma_f32 v9, -v15, v16, v19
	v_div_fixup_f32 v17, v8, v10, v14
	v_lshl_or_b32 v8, s7, 8, v80
	s_delay_alu instid0(VALU_DEP_3) | instskip(NEXT) | instid1(VALU_DEP_3)
	v_dual_fmac_f32 v16, v9, v12 :: v_dual_mov_b32 v9, 0
	v_cndmask_b32_e64 v14, v14, v17, s0
	s_delay_alu instid0(VALU_DEP_2) | instskip(NEXT) | instid1(VALU_DEP_3)
	v_fma_f32 v15, -v15, v16, v19
	v_lshlrev_b64 v[8:9], 2, v[8:9]
	s_delay_alu instid0(VALU_DEP_2) | instskip(SKIP_1) | instid1(VALU_DEP_3)
	v_div_fmas_f32 v12, v15, v12, v16
	v_cmp_ne_u32_e32 vcc_lo, 1, v82
	v_add_co_u32 v8, s1, s28, v8
	s_delay_alu instid0(VALU_DEP_1) | instskip(NEXT) | instid1(VALU_DEP_4)
	v_add_co_ci_u32_e64 v9, s1, s29, v9, s1
	v_div_fixup_f32 v12, v12, v10, v1
	s_and_b32 vcc_lo, exec_lo, vcc_lo
	s_delay_alu instid0(VALU_DEP_1)
	v_cndmask_b32_e64 v12, v1, v12, s0
	v_mov_b32_e32 v1, v13
	s_clause 0x1
	global_store_b32 v[8:9], v14, off
	global_store_b32 v[8:9], v12, off offset:512
	s_waitcnt_vscnt null, 0x0
	s_barrier
	buffer_gl0_inv
	s_cbranch_vccnz .LBB28_72
; %bb.69:
	v_or_b32_e32 v1, 0x2000, v79
	scratch_load_b128 v[14:17], off, off offset:64
	v_or_b32_e32 v31, 0x80, v7
	v_or_b32_e32 v32, 0x100, v7
	;; [unrolled: 1-line block ×3, first 2 shown]
	ds_load_b32 v1, v1 offset:128
	s_clause 0x2
	scratch_load_b128 v[19:22], off, off offset:80
	scratch_load_b128 v[23:26], off, off offset:96
	scratch_load_b128 v[27:30], off, off offset:112
	s_waitcnt lgkmcnt(0)
	ds_bpermute_b32 v8, v6, v1
	s_waitcnt lgkmcnt(0)
	v_dual_max_f32 v1, v1, v1 :: v_dual_max_f32 v8, v8, v8
	s_delay_alu instid0(VALU_DEP_1) | instskip(SKIP_3) | instid1(VALU_DEP_1)
	v_max_f32_e32 v1, v1, v8
	ds_bpermute_b32 v8, v5, v1
	s_waitcnt lgkmcnt(0)
	v_max_f32_e32 v8, v8, v8
	v_max_f32_e32 v1, v1, v8
	ds_bpermute_b32 v8, v4, v1
	s_waitcnt lgkmcnt(0)
	v_max_f32_e32 v8, v8, v8
	s_delay_alu instid0(VALU_DEP_1) | instskip(SKIP_3) | instid1(VALU_DEP_1)
	v_max_f32_e32 v1, v1, v8
	ds_bpermute_b32 v8, v3, v1
	s_waitcnt lgkmcnt(0)
	v_max_f32_e32 v8, v8, v8
	v_max_f32_e32 v1, v1, v8
	ds_bpermute_b32 v8, v2, v1
	s_waitcnt lgkmcnt(0)
	v_max_f32_e32 v8, v8, v8
	s_delay_alu instid0(VALU_DEP_1) | instskip(NEXT) | instid1(VALU_DEP_1)
	v_max_f32_e32 v1, v1, v8
	v_sub_f32_e32 v8, v13, v1
	s_delay_alu instid0(VALU_DEP_1) | instskip(SKIP_1) | instid1(VALU_DEP_2)
	v_mul_f32_e32 v9, 0x3fb8aa3b, v8
	v_cmp_ngt_f32_e32 vcc_lo, 0xc2ce8ed0, v8
	v_fma_f32 v12, 0x3fb8aa3b, v8, -v9
	v_rndne_f32_e32 v13, v9
	s_delay_alu instid0(VALU_DEP_1) | instskip(NEXT) | instid1(VALU_DEP_1)
	v_dual_fmamk_f32 v12, v8, 0x32a5705f, v12 :: v_dual_sub_f32 v9, v9, v13
	v_add_f32_e32 v9, v9, v12
	v_cvt_i32_f32_e32 v12, v13
	s_delay_alu instid0(VALU_DEP_2) | instskip(SKIP_2) | instid1(VALU_DEP_1)
	v_exp_f32_e32 v9, v9
	s_waitcnt_depctr 0xfff
	v_ldexp_f32 v9, v9, v12
	v_cndmask_b32_e32 v9, 0, v9, vcc_lo
	v_cmp_nlt_f32_e32 vcc_lo, 0x42b17218, v8
	s_delay_alu instid0(VALU_DEP_2) | instskip(NEXT) | instid1(VALU_DEP_1)
	v_cndmask_b32_e32 v8, 0x7f800000, v9, vcc_lo
	v_mul_f32_e32 v9, v11, v8
	ds_bpermute_b32 v9, v6, v9
	s_waitcnt lgkmcnt(0)
	v_fmac_f32_e32 v9, v11, v8
	v_cvt_f16_f32_e32 v8, v8
	ds_bpermute_b32 v11, v5, v9
	s_waitcnt lgkmcnt(0)
	v_add_f32_e32 v9, v9, v11
	ds_bpermute_b32 v11, v4, v9
	s_waitcnt lgkmcnt(0)
	v_add_f32_e32 v9, v9, v11
	ds_bpermute_b32 v11, v3, v9
	s_waitcnt vmcnt(3)
	v_pk_mul_f16 v12, v8, v14 op_sel_hi:[0,1]
	v_pk_mul_f16 v13, v8, v15 op_sel_hi:[0,1]
	v_pk_mul_f16 v14, v8, v16 op_sel_hi:[0,1]
	v_pk_mul_f16 v15, v8, v17 op_sel_hi:[0,1]
	s_waitcnt vmcnt(2)
	v_pk_mul_f16 v19, v8, v19 op_sel_hi:[0,1]
	v_pk_mul_f16 v20, v8, v20 op_sel_hi:[0,1]
	s_waitcnt lgkmcnt(0)
	v_add_f32_e32 v9, v9, v11
	v_pk_mul_f16 v21, v8, v21 op_sel_hi:[0,1]
	v_pk_mul_f16 v22, v8, v22 op_sel_hi:[0,1]
	s_waitcnt vmcnt(1)
	v_pk_mul_f16 v23, v8, v23 op_sel_hi:[0,1]
	v_pk_mul_f16 v24, v8, v24 op_sel_hi:[0,1]
	ds_bpermute_b32 v11, v2, v9
	v_pk_mul_f16 v25, v8, v25 op_sel_hi:[0,1]
	v_pk_mul_f16 v26, v8, v26 op_sel_hi:[0,1]
	s_waitcnt vmcnt(0)
	v_pk_mul_f16 v27, v8, v27 op_sel_hi:[0,1]
	v_pk_mul_f16 v28, v8, v28 op_sel_hi:[0,1]
	v_pk_mul_f16 v29, v8, v29 op_sel_hi:[0,1]
	v_pk_mul_f16 v30, v8, v30 op_sel_hi:[0,1]
	v_add_nc_u32_e32 v8, 0x2100, v79
	s_clause 0x3
	scratch_store_b128 off, v[12:15], off offset:64
	scratch_store_b128 off, v[19:22], off offset:80
	;; [unrolled: 1-line block ×4, first 2 shown]
	ds_store_b128 v7, v[12:15]
	ds_store_b128 v31, v[19:22]
	ds_store_b128 v32, v[23:26]
	ds_store_b128 v33, v[27:30]
	s_and_saveexec_b32 s1, s2
	s_cbranch_execz .LBB28_71
; %bb.70:
	v_lshlrev_b32_e32 v7, 2, v81
	s_waitcnt lgkmcnt(4)
	v_add_f32_e32 v9, v9, v11
	ds_store_b32 v7, v9 offset:8576
.LBB28_71:
	s_or_b32 exec_lo, exec_lo, s1
	s_waitcnt lgkmcnt(0)
	s_waitcnt_vscnt null, 0x0
	s_barrier
	buffer_gl0_inv
	ds_load_b32 v7, v8 offset:128
	ds_load_u16 v8, v18
	ds_load_u16 v9, v18 offset:1280
	ds_load_u16 v11, v18 offset:768
	;; [unrolled: 1-line block ×6, first 2 shown]
	s_add_i32 s6, s6, s35
	s_delay_alu instid0(SALU_CYCLE_1) | instskip(NEXT) | instid1(SALU_CYCLE_1)
	s_mul_i32 s2, s3, s6
	s_add_i32 s2, s2, s14
	s_waitcnt lgkmcnt(7)
	ds_bpermute_b32 v6, v6, v7
	s_waitcnt lgkmcnt(7)
	v_cvt_f32_f16_e32 v8, v8
	s_waitcnt lgkmcnt(6)
	v_cvt_f32_f16_e32 v9, v9
	;; [unrolled: 2-line block ×3, first 2 shown]
	v_cvt_f32_f16_e32 v12, v12
	s_waitcnt lgkmcnt(2)
	v_cvt_f32_f16_e32 v14, v14
	v_cvt_f32_f16_e32 v11, v11
	s_waitcnt lgkmcnt(0)
	v_add_f32_e32 v6, v7, v6
	ds_load_u16 v7, v18 offset:3584
	ds_load_u16 v16, v18 offset:3328
	;; [unrolled: 1-line block ×17, first 2 shown]
	ds_bpermute_b32 v5, v5, v6
	v_add_f32_e32 v8, 0, v8
	s_waitcnt lgkmcnt(17)
	v_cvt_f32_f16_e32 v7, v7
	s_waitcnt lgkmcnt(15)
	v_cvt_f32_f16_e32 v17, v17
	;; [unrolled: 2-line block ×3, first 2 shown]
	s_waitcnt lgkmcnt(0)
	v_dual_add_f32 v5, v6, v5 :: v_dual_add_f32 v6, 0, v12
	v_cvt_f32_f16_e32 v12, v15
	v_cvt_f32_f16_e32 v15, v20
	;; [unrolled: 1-line block ×3, first 2 shown]
	ds_bpermute_b32 v4, v4, v5
	s_waitcnt lgkmcnt(0)
	v_add_f32_e32 v4, v5, v4
	v_cvt_f32_f16_e32 v5, v16
	v_cvt_f32_f16_e32 v16, v29
	v_add_f32_e32 v8, v8, v13
	v_cvt_f32_f16_e32 v13, v22
	ds_bpermute_b32 v3, v3, v4
	v_add_f32_e32 v8, v8, v14
	v_cvt_f32_f16_e32 v14, v23
	s_delay_alu instid0(VALU_DEP_2) | instskip(NEXT) | instid1(VALU_DEP_1)
	v_add_f32_e32 v8, v8, v12
	v_add_f32_e32 v8, v8, v13
	s_delay_alu instid0(VALU_DEP_1) | instskip(SKIP_3) | instid1(VALU_DEP_3)
	v_add_f32_e32 v8, v8, v15
	v_cvt_f32_f16_e32 v15, v31
	s_waitcnt lgkmcnt(0)
	v_add_f32_e32 v3, v4, v3
	v_add_f32_e32 v8, v8, v17
	v_cvt_f32_f16_e32 v17, v27
	v_add_f32_e32 v6, v6, v11
	ds_load_u16 v11, v18 offset:6912
	ds_bpermute_b32 v2, v2, v3
	v_dual_add_f32 v7, v8, v7 :: v_dual_add_f32 v6, v6, v9
	ds_load_u16 v9, v18 offset:6656
	ds_load_u16 v12, v18 offset:6400
	v_add_f32_e32 v6, v6, v14
	ds_load_u16 v13, v18 offset:6144
	ds_load_u16 v14, v18 offset:5888
	;; [unrolled: 1-line block ×3, first 2 shown]
	v_add_f32_e32 v6, v6, v20
	s_delay_alu instid0(VALU_DEP_1) | instskip(NEXT) | instid1(VALU_DEP_1)
	v_add_f32_e32 v6, v6, v19
	v_add_f32_e32 v5, v6, v5
	v_cvt_f32_f16_e32 v6, v30
	s_waitcnt lgkmcnt(3)
	v_cvt_f32_f16_e32 v12, v12
	s_delay_alu instid0(VALU_DEP_3)
	v_add_f32_e32 v5, v5, v15
	v_cvt_f32_f16_e32 v15, v28
	v_add_f32_e32 v6, v7, v6
	ds_load_u16 v7, v18 offset:7680
	s_waitcnt lgkmcnt(2)
	v_cvt_f32_f16_e32 v4, v14
	v_add_f32_e32 v5, v5, v16
	v_cvt_f32_f16_e32 v16, v26
	v_add_f32_e32 v6, v6, v15
	ds_load_u16 v15, v18 offset:7936
	v_cvt_f32_f16_e32 v18, v25
	v_add_f32_e32 v5, v5, v17
	v_cvt_f32_f16_e32 v17, v24
	v_add_f32_e32 v6, v6, v16
	v_cvt_f32_f16_e32 v13, v13
	s_waitcnt lgkmcnt(2)
	v_cvt_f32_f16_e32 v8, v8
	s_delay_alu instid0(VALU_DEP_3) | instskip(NEXT) | instid1(VALU_DEP_1)
	v_dual_add_f32 v5, v5, v18 :: v_dual_add_f32 v6, v6, v17
	v_add_f32_e32 v4, v5, v4
	v_cvt_f32_f16_e32 v5, v9
	s_delay_alu instid0(VALU_DEP_3)
	v_add_f32_e32 v6, v6, v13
	v_cvt_f32_f16_e32 v9, v11
	s_waitcnt lgkmcnt(1)
	v_cvt_f32_f16_e32 v7, v7
	v_dual_add_f32 v4, v4, v12 :: v_dual_add_f32 v11, v3, v2
	v_add_f32_e32 v5, v6, v5
	v_cvt_f32_f16_e32 v6, v32
	s_delay_alu instid0(VALU_DEP_2) | instskip(SKIP_2) | instid1(VALU_DEP_2)
	v_dual_add_f32 v4, v4, v9 :: v_dual_add_f32 v5, v5, v8
	s_waitcnt lgkmcnt(0)
	v_cvt_f32_f16_e32 v8, v15
	v_dual_add_f32 v4, v4, v6 :: v_dual_add_f32 v5, v5, v7
	s_delay_alu instid0(VALU_DEP_1) | instskip(NEXT) | instid1(VALU_DEP_2)
	v_add_f32_e32 v4, v4, v8
	v_div_scale_f32 v2, null, v11, v11, v5
	v_div_scale_f32 v12, vcc_lo, v5, v11, v5
	s_delay_alu instid0(VALU_DEP_3) | instskip(NEXT) | instid1(VALU_DEP_3)
	v_div_scale_f32 v6, null, v11, v11, v4
	v_rcp_f32_e32 v7, v2
	v_div_scale_f32 v13, s1, v4, v11, v4
	s_delay_alu instid0(VALU_DEP_2) | instskip(SKIP_3) | instid1(VALU_DEP_1)
	v_rcp_f32_e32 v8, v6
	s_waitcnt_depctr 0xfff
	v_fma_f32 v3, -v2, v7, 1.0
	v_fma_f32 v9, -v6, v8, 1.0
	v_dual_fmac_f32 v7, v3, v7 :: v_dual_fmac_f32 v8, v9, v8
	s_delay_alu instid0(VALU_DEP_1) | instskip(NEXT) | instid1(VALU_DEP_1)
	v_dual_mul_f32 v9, v12, v7 :: v_dual_mul_f32 v14, v13, v8
	v_fma_f32 v3, -v2, v9, v12
	s_delay_alu instid0(VALU_DEP_2) | instskip(NEXT) | instid1(VALU_DEP_2)
	v_fma_f32 v15, -v6, v14, v13
	v_fmac_f32_e32 v9, v3, v7
	s_delay_alu instid0(VALU_DEP_2) | instskip(NEXT) | instid1(VALU_DEP_2)
	v_dual_mov_b32 v3, 0 :: v_dual_fmac_f32 v14, v15, v8
	v_fma_f32 v12, -v2, v9, v12
	v_lshl_or_b32 v2, s2, 8, v80
	s_delay_alu instid0(VALU_DEP_3) | instskip(NEXT) | instid1(VALU_DEP_3)
	v_fma_f32 v6, -v6, v14, v13
	v_div_fmas_f32 v7, v12, v7, v9
	s_mov_b32 vcc_lo, s1
	s_delay_alu instid0(VALU_DEP_3) | instskip(NEXT) | instid1(VALU_DEP_3)
	v_lshlrev_b64 v[2:3], 2, v[2:3]
	v_div_fmas_f32 v6, v6, v8, v14
	s_delay_alu instid0(VALU_DEP_3) | instskip(NEXT) | instid1(VALU_DEP_2)
	v_div_fixup_f32 v7, v7, v11, v5
	v_div_fixup_f32 v6, v6, v11, v4
	s_delay_alu instid0(VALU_DEP_4) | instskip(SKIP_1) | instid1(VALU_DEP_4)
	v_add_co_u32 v2, vcc_lo, s28, v2
	v_add_co_ci_u32_e32 v3, vcc_lo, s29, v3, vcc_lo
	v_cndmask_b32_e64 v5, v5, v7, s0
	s_delay_alu instid0(VALU_DEP_4)
	v_cndmask_b32_e64 v4, v4, v6, s0
	s_clause 0x1
	global_store_b32 v[2:3], v5, off
	global_store_b32 v[2:3], v4, off offset:512
.LBB28_72:
	v_dual_mov_b32 v13, v1 :: v_dual_mov_b32 v12, v0
.LBB28_73:
	s_load_b32 s1, s[4:5], 0x4
	v_or_b32_e32 v0, s15, v78
	v_cmp_gt_u32_e32 vcc_lo, 2, v80
	s_delay_alu instid0(VALU_DEP_2) | instskip(SKIP_3) | instid1(SALU_CYCLE_1)
	v_cmp_gt_i32_e64 s0, s34, v0
	s_waitcnt lgkmcnt(0)
	s_cmp_lg_u32 s1, 1
	s_cselect_b32 s2, -1, 0
	s_and_b32 s2, vcc_lo, s2
	s_delay_alu instid0(SALU_CYCLE_1) | instskip(NEXT) | instid1(SALU_CYCLE_1)
	s_and_b32 s0, s2, s0
	s_and_saveexec_b32 s2, s0
	s_cbranch_execz .LBB28_75
; %bb.74:
	v_mad_u64_u32 v[1:2], null, s33, s34, v[0:1]
	v_cmp_eq_u32_e32 vcc_lo, 1, v80
	s_delay_alu instid0(VALU_DEP_2) | instskip(SKIP_1) | instid1(VALU_DEP_2)
	v_mad_u64_u32 v[2:3], null, v1, s35, s[12:13]
	v_cndmask_b32_e32 v3, v10, v11, vcc_lo
	v_mad_u64_u32 v[0:1], null, s1, v2, s[14:15]
	v_dual_mov_b32 v1, 0 :: v_dual_cndmask_b32 v2, v12, v13
	s_delay_alu instid0(VALU_DEP_1) | instskip(NEXT) | instid1(VALU_DEP_1)
	v_lshlrev_b64 v[0:1], 3, v[0:1]
	v_add_co_u32 v0, vcc_lo, s30, v0
	s_delay_alu instid0(VALU_DEP_2)
	v_add_co_ci_u32_e32 v1, vcc_lo, s31, v1, vcc_lo
	global_store_b64 v[0:1], v[2:3], off
.LBB28_75:
	s_nop 0
	s_sendmsg sendmsg(MSG_DEALLOC_VGPRS)
	s_endpgm
	.section	.rodata,"a",@progbits
	.p2align	6, 0x0
	.amdhsa_kernel _ZL18flash_attn_ext_vecILi256ELi2EL9ggml_type30ELS0_1ELb0EEvPKcS2_S2_S2_S2_PKiPfP15HIP_vector_typeIfLj2EEffffjfiS6_IjLj3EEiiiiiiiiiiiliiliiiiil
		.amdhsa_group_segment_fixed_size 8704
		.amdhsa_private_segment_fixed_size 272
		.amdhsa_kernarg_size 464
		.amdhsa_user_sgpr_count 13
		.amdhsa_user_sgpr_dispatch_ptr 0
		.amdhsa_user_sgpr_queue_ptr 0
		.amdhsa_user_sgpr_kernarg_segment_ptr 1
		.amdhsa_user_sgpr_dispatch_id 0
		.amdhsa_user_sgpr_private_segment_size 0
		.amdhsa_wavefront_size32 1
		.amdhsa_uses_dynamic_stack 0
		.amdhsa_enable_private_segment 1
		.amdhsa_system_sgpr_workgroup_id_x 1
		.amdhsa_system_sgpr_workgroup_id_y 1
		.amdhsa_system_sgpr_workgroup_id_z 1
		.amdhsa_system_sgpr_workgroup_info 0
		.amdhsa_system_vgpr_workitem_id 1
		.amdhsa_next_free_vgpr 256
		.amdhsa_next_free_sgpr 52
		.amdhsa_reserve_vcc 1
		.amdhsa_float_round_mode_32 0
		.amdhsa_float_round_mode_16_64 0
		.amdhsa_float_denorm_mode_32 3
		.amdhsa_float_denorm_mode_16_64 3
		.amdhsa_dx10_clamp 1
		.amdhsa_ieee_mode 1
		.amdhsa_fp16_overflow 0
		.amdhsa_workgroup_processor_mode 1
		.amdhsa_memory_ordered 1
		.amdhsa_forward_progress 0
		.amdhsa_shared_vgpr_count 0
		.amdhsa_exception_fp_ieee_invalid_op 0
		.amdhsa_exception_fp_denorm_src 0
		.amdhsa_exception_fp_ieee_div_zero 0
		.amdhsa_exception_fp_ieee_overflow 0
		.amdhsa_exception_fp_ieee_underflow 0
		.amdhsa_exception_fp_ieee_inexact 0
		.amdhsa_exception_int_div_zero 0
	.end_amdhsa_kernel
	.section	.text._ZL18flash_attn_ext_vecILi256ELi2EL9ggml_type30ELS0_1ELb0EEvPKcS2_S2_S2_S2_PKiPfP15HIP_vector_typeIfLj2EEffffjfiS6_IjLj3EEiiiiiiiiiiiliiliiiiil,"axG",@progbits,_ZL18flash_attn_ext_vecILi256ELi2EL9ggml_type30ELS0_1ELb0EEvPKcS2_S2_S2_S2_PKiPfP15HIP_vector_typeIfLj2EEffffjfiS6_IjLj3EEiiiiiiiiiiiliiliiiiil,comdat
.Lfunc_end28:
	.size	_ZL18flash_attn_ext_vecILi256ELi2EL9ggml_type30ELS0_1ELb0EEvPKcS2_S2_S2_S2_PKiPfP15HIP_vector_typeIfLj2EEffffjfiS6_IjLj3EEiiiiiiiiiiiliiliiiiil, .Lfunc_end28-_ZL18flash_attn_ext_vecILi256ELi2EL9ggml_type30ELS0_1ELb0EEvPKcS2_S2_S2_S2_PKiPfP15HIP_vector_typeIfLj2EEffffjfiS6_IjLj3EEiiiiiiiiiiiliiliiiiil
                                        ; -- End function
	.section	.AMDGPU.csdata,"",@progbits
; Kernel info:
; codeLenInByte = 21852
; NumSgprs: 54
; NumVgprs: 256
; ScratchSize: 272
; MemoryBound: 1
; FloatMode: 240
; IeeeMode: 1
; LDSByteSize: 8704 bytes/workgroup (compile time only)
; SGPRBlocks: 6
; VGPRBlocks: 31
; NumSGPRsForWavesPerEU: 54
; NumVGPRsForWavesPerEU: 256
; Occupancy: 5
; WaveLimiterHint : 1
; COMPUTE_PGM_RSRC2:SCRATCH_EN: 1
; COMPUTE_PGM_RSRC2:USER_SGPR: 13
; COMPUTE_PGM_RSRC2:TRAP_HANDLER: 0
; COMPUTE_PGM_RSRC2:TGID_X_EN: 1
; COMPUTE_PGM_RSRC2:TGID_Y_EN: 1
; COMPUTE_PGM_RSRC2:TGID_Z_EN: 1
; COMPUTE_PGM_RSRC2:TIDIG_COMP_CNT: 1
	.section	.text._ZL33flash_attn_stream_k_fixup_uniformILi256ELi2ELi1EEvPfPK15HIP_vector_typeIfLj2EEiiiiiiS1_IjLj3EES5_S5_,"axG",@progbits,_ZL33flash_attn_stream_k_fixup_uniformILi256ELi2ELi1EEvPfPK15HIP_vector_typeIfLj2EEiiiiiiS1_IjLj3EES5_S5_,comdat
	.globl	_ZL33flash_attn_stream_k_fixup_uniformILi256ELi2ELi1EEvPfPK15HIP_vector_typeIfLj2EEiiiiiiS1_IjLj3EES5_S5_ ; -- Begin function _ZL33flash_attn_stream_k_fixup_uniformILi256ELi2ELi1EEvPfPK15HIP_vector_typeIfLj2EEiiiiiiS1_IjLj3EES5_S5_
	.p2align	8
	.type	_ZL33flash_attn_stream_k_fixup_uniformILi256ELi2ELi1EEvPfPK15HIP_vector_typeIfLj2EEiiiiiiS1_IjLj3EES5_S5_,@function
_ZL33flash_attn_stream_k_fixup_uniformILi256ELi2ELi1EEvPfPK15HIP_vector_typeIfLj2EEiiiiiiS1_IjLj3EES5_S5_: ; @_ZL33flash_attn_stream_k_fixup_uniformILi256ELi2ELi1EEvPfPK15HIP_vector_typeIfLj2EEiiiiiiS1_IjLj3EES5_S5_
; %bb.0:
	s_clause 0x1
	s_load_b256 s[4:11], s[0:1], 0x1c
	s_load_b128 s[16:19], s[0:1], 0x3c
	s_waitcnt lgkmcnt(0)
	s_mul_hi_u32 s2, s7, s13
	s_delay_alu instid0(SALU_CYCLE_1) | instskip(NEXT) | instid1(SALU_CYCLE_1)
	s_add_i32 s2, s13, s2
	s_lshr_b32 s2, s2, s8
	s_delay_alu instid0(SALU_CYCLE_1) | instskip(SKIP_2) | instid1(SALU_CYCLE_1)
	s_mul_i32 s3, s2, s9
	s_load_b64 s[8:9], s[0:1], 0x10
	s_sub_i32 s7, s13, s3
	s_mul_hi_u32 s3, s7, s10
	s_delay_alu instid0(SALU_CYCLE_1) | instskip(NEXT) | instid1(SALU_CYCLE_1)
	s_add_i32 s3, s7, s3
	s_lshr_b32 s3, s3, s11
	s_delay_alu instid0(SALU_CYCLE_1) | instskip(NEXT) | instid1(SALU_CYCLE_1)
	s_mul_i32 s10, s3, s16
	s_sub_i32 s10, s7, s10
	s_delay_alu instid0(SALU_CYCLE_1) | instskip(NEXT) | instid1(SALU_CYCLE_1)
	s_mul_hi_u32 s7, s10, s17
	s_add_i32 s7, s10, s7
	s_delay_alu instid0(SALU_CYCLE_1) | instskip(NEXT) | instid1(SALU_CYCLE_1)
	s_lshr_b32 s7, s7, s18
	s_mul_i32 s11, s7, s19
	s_delay_alu instid0(SALU_CYCLE_1) | instskip(NEXT) | instid1(SALU_CYCLE_1)
	s_sub_i32 s10, s10, s11
	s_lshl_b32 s11, s10, 1
	s_delay_alu instid0(SALU_CYCLE_1) | instskip(SKIP_4) | instid1(SALU_CYCLE_1)
	s_add_i32 s11, s11, s14
	s_waitcnt lgkmcnt(0)
	s_cmp_lt_i32 s11, s8
	s_cselect_b32 s11, -1, 0
	s_add_i32 s12, s7, s15
	s_cmp_lt_i32 s12, s5
	s_cselect_b32 s12, -1, 0
	s_delay_alu instid0(SALU_CYCLE_1) | instskip(NEXT) | instid1(SALU_CYCLE_1)
	s_and_b32 s11, s11, s12
	s_and_not1_b32 vcc_lo, exec_lo, s11
	s_cbranch_vccnz .LBB29_6
; %bb.1:
	s_mul_i32 s2, s2, s8
	s_mul_i32 s5, s3, s5
	s_add_i32 s2, s2, s14
	s_delay_alu instid0(SALU_CYCLE_1) | instskip(NEXT) | instid1(SALU_CYCLE_1)
	s_mul_i32 s2, s2, s9
	s_add_i32 s8, s2, s15
	s_load_b128 s[0:3], s[0:1], 0x0
	s_add_i32 s5, s8, s5
	s_mul_i32 s8, s9, s10
	s_add_i32 s5, s5, s7
	s_lshl_b32 s7, s8, 9
	s_lshl_b32 s5, s5, 8
	s_add_i32 s10, s14, s15
	s_add_i32 s7, s7, s5
	s_mul_i32 s5, s13, s6
	v_or_b32_e32 v1, s7, v0
	s_add_i32 s9, s5, s6
	s_delay_alu instid0(VALU_DEP_1) | instskip(NEXT) | instid1(VALU_DEP_1)
	v_ashrrev_i32_e32 v2, 31, v1
	v_lshlrev_b64 v[1:2], 2, v[1:2]
	s_waitcnt lgkmcnt(0)
	s_delay_alu instid0(VALU_DEP_1) | instskip(NEXT) | instid1(VALU_DEP_2)
	v_add_co_u32 v1, vcc_lo, s0, v1
	v_add_co_ci_u32_e32 v2, vcc_lo, s1, v2, vcc_lo
	s_lshl_b32 s0, s9, 1
	s_delay_alu instid0(SALU_CYCLE_1) | instskip(SKIP_2) | instid1(SALU_CYCLE_1)
	s_add_i32 s0, s10, s0
	global_load_b32 v5, v[1:2], off
	s_add_i32 s0, s0, -2
	s_ashr_i32 s1, s0, 31
	s_delay_alu instid0(SALU_CYCLE_1) | instskip(NEXT) | instid1(SALU_CYCLE_1)
	s_lshl_b64 s[0:1], s[0:1], 3
	s_add_u32 s0, s2, s0
	s_addc_u32 s1, s3, s1
	s_add_i32 s7, s9, -2
	s_load_b32 s11, s[0:1], 0x4
	s_cmp_lt_i32 s7, s5
	s_cbranch_scc1 .LBB29_4
; %bb.2:
	s_lshl_b32 s14, s4, 3
	s_load_b32 s12, s[0:1], 0x0
	s_ashr_i32 s15, s14, 31
	s_delay_alu instid0(SALU_CYCLE_1) | instskip(NEXT) | instid1(SALU_CYCLE_1)
	s_lshl_b64 s[0:1], s[14:15], 2
	s_add_u32 s7, s2, s0
	s_addc_u32 s8, s3, s1
	s_add_i32 s13, s13, 1
	s_lshl_b32 s1, s10, 8
	s_mul_i32 s0, s6, s13
	s_delay_alu instid0(SALU_CYCLE_1)
	s_lshl_b32 s6, s0, 9
	s_lshl_b32 s0, s0, 1
	s_add_i32 s1, s1, s6
	s_add_i32 s0, s10, s0
	v_or_b32_e32 v0, s1, v0
	s_lshl_b32 s1, s4, 1
	s_waitcnt lgkmcnt(0)
	v_mov_b32_e32 v6, s11
	s_add_i32 s0, s0, s1
	s_add_i32 s4, s9, -1
	v_dual_mov_b32 v0, s12 :: v_dual_add_nc_u32 v3, 0xfffffc00, v0
	s_add_i32 s0, s0, -4
.LBB29_3:                               ; =>This Inner Loop Header: Depth=1
	s_delay_alu instid0(VALU_DEP_1) | instskip(SKIP_1) | instid1(SALU_CYCLE_1)
	v_ashrrev_i32_e32 v4, 31, v3
	s_ashr_i32 s1, s0, 31
	s_lshl_b64 s[10:11], s[0:1], 3
	s_delay_alu instid0(SALU_CYCLE_1) | instskip(NEXT) | instid1(VALU_DEP_1)
	s_add_u32 s10, s2, s10
	v_lshlrev_b64 v[7:8], 2, v[3:4]
	s_addc_u32 s11, s3, s11
	s_add_i32 s4, s4, -1
	s_add_i32 s0, s0, -2
	s_cmp_le_i32 s4, s5
	s_load_b64 s[10:11], s[10:11], 0x0
	v_add_co_u32 v7, vcc_lo, s7, v7
	v_add_co_ci_u32_e32 v8, vcc_lo, s8, v8, vcc_lo
	global_load_b32 v4, v[7:8], off
	v_max_f32_e32 v7, v0, v0
	s_waitcnt lgkmcnt(0)
	v_max_f32_e64 v8, s10, s10
	s_delay_alu instid0(VALU_DEP_1) | instskip(NEXT) | instid1(VALU_DEP_1)
	v_max_f32_e32 v7, v7, v8
	v_sub_f32_e32 v8, s10, v7
	s_delay_alu instid0(VALU_DEP_1) | instskip(NEXT) | instid1(VALU_DEP_1)
	v_dual_sub_f32 v0, v0, v7 :: v_dual_mul_f32 v9, 0x3fb8aa3b, v8
	v_fma_f32 v10, 0x3fb8aa3b, v8, -v9
	v_rndne_f32_e32 v11, v9
	s_delay_alu instid0(VALU_DEP_3) | instskip(NEXT) | instid1(VALU_DEP_2)
	v_mul_f32_e32 v12, 0x3fb8aa3b, v0
	v_dual_fmac_f32 v10, 0x32a5705f, v8 :: v_dual_sub_f32 v9, v9, v11
	v_cvt_i32_f32_e32 v11, v11
	s_delay_alu instid0(VALU_DEP_3) | instskip(SKIP_1) | instid1(VALU_DEP_4)
	v_fma_f32 v13, 0x3fb8aa3b, v0, -v12
	v_rndne_f32_e32 v14, v12
	v_add_f32_e32 v9, v9, v10
	v_cmp_ngt_f32_e32 vcc_lo, 0xc2ce8ed0, v8
	s_delay_alu instid0(VALU_DEP_3) | instskip(NEXT) | instid1(VALU_DEP_3)
	v_sub_f32_e32 v10, v12, v14
	v_exp_f32_e32 v9, v9
	s_waitcnt_depctr 0xfff
	v_ldexp_f32 v9, v9, v11
	v_cvt_i32_f32_e32 v11, v14
	s_delay_alu instid0(VALU_DEP_2) | instskip(SKIP_1) | instid1(VALU_DEP_2)
	v_cndmask_b32_e32 v9, 0, v9, vcc_lo
	v_cmp_nlt_f32_e32 vcc_lo, 0x42b17218, v8
	v_cndmask_b32_e32 v9, 0x7f800000, v9, vcc_lo
	v_cmp_ngt_f32_e32 vcc_lo, 0xc2ce8ed0, v0
	v_fmac_f32_e32 v13, 0x32a5705f, v0
	s_delay_alu instid0(VALU_DEP_1) | instskip(NEXT) | instid1(VALU_DEP_1)
	v_add_f32_e32 v10, v10, v13
	v_exp_f32_e32 v10, v10
	s_waitcnt_depctr 0xfff
	v_ldexp_f32 v10, v10, v11
	s_delay_alu instid0(VALU_DEP_1)
	v_dual_mov_b32 v11, v6 :: v_dual_cndmask_b32 v10, 0, v10
	v_cmp_le_f32_e32 vcc_lo, 0xc1a00000, v8
	s_waitcnt vmcnt(1)
	v_dual_cndmask_b32 v8, 0, v9 :: v_dual_mov_b32 v9, v5
	v_cmp_nlt_f32_e32 vcc_lo, 0x42b17218, v0
	v_cndmask_b32_e32 v5, 0x7f800000, v10, vcc_lo
	s_delay_alu instid0(VALU_DEP_3) | instskip(SKIP_2) | instid1(VALU_DEP_3)
	v_mul_f32_e32 v10, s11, v8
	v_cmp_le_f32_e32 vcc_lo, 0xc1a00000, v0
	v_mov_b32_e32 v0, v7
	v_mov_b32_e32 v6, v10
	s_waitcnt vmcnt(0)
	v_dual_cndmask_b32 v12, 0, v5 :: v_dual_mul_f32 v5, v4, v8
	s_delay_alu instid0(VALU_DEP_1) | instskip(NEXT) | instid1(VALU_DEP_2)
	v_dual_fmac_f32 v6, v11, v12 :: v_dual_add_nc_u32 v3, 0xfffffe00, v3
	v_fmac_f32_e32 v5, v9, v12
	s_cbranch_scc0 .LBB29_3
	s_branch .LBB29_5
.LBB29_4:
	s_waitcnt lgkmcnt(0)
	v_mov_b32_e32 v6, s11
.LBB29_5:
	s_waitcnt vmcnt(0)
	s_delay_alu instid0(VALU_DEP_1) | instskip(NEXT) | instid1(VALU_DEP_1)
	v_div_scale_f32 v0, null, v6, v6, v5
	v_rcp_f32_e32 v3, v0
	s_waitcnt_depctr 0xfff
	v_fma_f32 v4, -v0, v3, 1.0
	s_delay_alu instid0(VALU_DEP_1) | instskip(SKIP_1) | instid1(VALU_DEP_1)
	v_fmac_f32_e32 v3, v4, v3
	v_div_scale_f32 v4, vcc_lo, v5, v6, v5
	v_mul_f32_e32 v7, v4, v3
	s_delay_alu instid0(VALU_DEP_1) | instskip(NEXT) | instid1(VALU_DEP_1)
	v_fma_f32 v8, -v0, v7, v4
	v_fmac_f32_e32 v7, v8, v3
	s_delay_alu instid0(VALU_DEP_1) | instskip(NEXT) | instid1(VALU_DEP_1)
	v_fma_f32 v0, -v0, v7, v4
	v_div_fmas_f32 v0, v0, v3, v7
	s_delay_alu instid0(VALU_DEP_1)
	v_div_fixup_f32 v0, v0, v6, v5
	global_store_b32 v[1:2], v0, off
.LBB29_6:
	s_nop 0
	s_sendmsg sendmsg(MSG_DEALLOC_VGPRS)
	s_endpgm
	.section	.rodata,"a",@progbits
	.p2align	6, 0x0
	.amdhsa_kernel _ZL33flash_attn_stream_k_fixup_uniformILi256ELi2ELi1EEvPfPK15HIP_vector_typeIfLj2EEiiiiiiS1_IjLj3EES5_S5_
		.amdhsa_group_segment_fixed_size 0
		.amdhsa_private_segment_fixed_size 0
		.amdhsa_kernarg_size 76
		.amdhsa_user_sgpr_count 13
		.amdhsa_user_sgpr_dispatch_ptr 0
		.amdhsa_user_sgpr_queue_ptr 0
		.amdhsa_user_sgpr_kernarg_segment_ptr 1
		.amdhsa_user_sgpr_dispatch_id 0
		.amdhsa_user_sgpr_private_segment_size 0
		.amdhsa_wavefront_size32 1
		.amdhsa_uses_dynamic_stack 0
		.amdhsa_enable_private_segment 0
		.amdhsa_system_sgpr_workgroup_id_x 1
		.amdhsa_system_sgpr_workgroup_id_y 1
		.amdhsa_system_sgpr_workgroup_id_z 1
		.amdhsa_system_sgpr_workgroup_info 0
		.amdhsa_system_vgpr_workitem_id 0
		.amdhsa_next_free_vgpr 15
		.amdhsa_next_free_sgpr 20
		.amdhsa_reserve_vcc 1
		.amdhsa_float_round_mode_32 0
		.amdhsa_float_round_mode_16_64 0
		.amdhsa_float_denorm_mode_32 3
		.amdhsa_float_denorm_mode_16_64 3
		.amdhsa_dx10_clamp 1
		.amdhsa_ieee_mode 1
		.amdhsa_fp16_overflow 0
		.amdhsa_workgroup_processor_mode 1
		.amdhsa_memory_ordered 1
		.amdhsa_forward_progress 0
		.amdhsa_shared_vgpr_count 0
		.amdhsa_exception_fp_ieee_invalid_op 0
		.amdhsa_exception_fp_denorm_src 0
		.amdhsa_exception_fp_ieee_div_zero 0
		.amdhsa_exception_fp_ieee_overflow 0
		.amdhsa_exception_fp_ieee_underflow 0
		.amdhsa_exception_fp_ieee_inexact 0
		.amdhsa_exception_int_div_zero 0
	.end_amdhsa_kernel
	.section	.text._ZL33flash_attn_stream_k_fixup_uniformILi256ELi2ELi1EEvPfPK15HIP_vector_typeIfLj2EEiiiiiiS1_IjLj3EES5_S5_,"axG",@progbits,_ZL33flash_attn_stream_k_fixup_uniformILi256ELi2ELi1EEvPfPK15HIP_vector_typeIfLj2EEiiiiiiS1_IjLj3EES5_S5_,comdat
.Lfunc_end29:
	.size	_ZL33flash_attn_stream_k_fixup_uniformILi256ELi2ELi1EEvPfPK15HIP_vector_typeIfLj2EEiiiiiiS1_IjLj3EES5_S5_, .Lfunc_end29-_ZL33flash_attn_stream_k_fixup_uniformILi256ELi2ELi1EEvPfPK15HIP_vector_typeIfLj2EEiiiiiiS1_IjLj3EES5_S5_
                                        ; -- End function
	.section	.AMDGPU.csdata,"",@progbits
; Kernel info:
; codeLenInByte = 976
; NumSgprs: 22
; NumVgprs: 15
; ScratchSize: 0
; MemoryBound: 0
; FloatMode: 240
; IeeeMode: 1
; LDSByteSize: 0 bytes/workgroup (compile time only)
; SGPRBlocks: 2
; VGPRBlocks: 1
; NumSGPRsForWavesPerEU: 22
; NumVGPRsForWavesPerEU: 15
; Occupancy: 16
; WaveLimiterHint : 0
; COMPUTE_PGM_RSRC2:SCRATCH_EN: 0
; COMPUTE_PGM_RSRC2:USER_SGPR: 13
; COMPUTE_PGM_RSRC2:TRAP_HANDLER: 0
; COMPUTE_PGM_RSRC2:TGID_X_EN: 1
; COMPUTE_PGM_RSRC2:TGID_Y_EN: 1
; COMPUTE_PGM_RSRC2:TGID_Z_EN: 1
; COMPUTE_PGM_RSRC2:TIDIG_COMP_CNT: 0
	.section	.text._ZL33flash_attn_stream_k_fixup_generalILi256ELi2ELi1EEvPfPK15HIP_vector_typeIfLj2EEiiiiS1_IjLj3EES5_S5_S5_,"axG",@progbits,_ZL33flash_attn_stream_k_fixup_generalILi256ELi2ELi1EEvPfPK15HIP_vector_typeIfLj2EEiiiiS1_IjLj3EES5_S5_S5_,comdat
	.globl	_ZL33flash_attn_stream_k_fixup_generalILi256ELi2ELi1EEvPfPK15HIP_vector_typeIfLj2EEiiiiS1_IjLj3EES5_S5_S5_ ; -- Begin function _ZL33flash_attn_stream_k_fixup_generalILi256ELi2ELi1EEvPfPK15HIP_vector_typeIfLj2EEiiiiS1_IjLj3EES5_S5_S5_
	.p2align	8
	.type	_ZL33flash_attn_stream_k_fixup_generalILi256ELi2ELi1EEvPfPK15HIP_vector_typeIfLj2EEiiiiS1_IjLj3EES5_S5_S5_,@function
_ZL33flash_attn_stream_k_fixup_generalILi256ELi2ELi1EEvPfPK15HIP_vector_typeIfLj2EEiiiiS1_IjLj3EES5_S5_S5_: ; @_ZL33flash_attn_stream_k_fixup_generalILi256ELi2ELi1EEvPfPK15HIP_vector_typeIfLj2EEiiiiS1_IjLj3EES5_S5_S5_
; %bb.0:
	s_clause 0x1
	s_load_b128 s[4:7], s[0:1], 0x10
	s_load_b32 s20, s[0:1], 0x50
	s_mov_b32 s2, 0
	s_waitcnt lgkmcnt(0)
	s_mul_hi_i32 s3, s7, s13
	s_mul_i32 s12, s7, s13
	s_cmp_lg_u64 s[2:3], 0
	s_cbranch_scc0 .LBB30_21
; %bb.1:
	v_cvt_f32_ubyte0_e32 v1, 0
	v_cvt_f32_u32_e32 v2, s20
	s_sub_u32 s10, 0, s20
	s_subb_u32 s11, 0, 0
	s_delay_alu instid0(VALU_DEP_1) | instskip(NEXT) | instid1(VALU_DEP_1)
	v_fmamk_f32 v1, v1, 0x4f800000, v2
	v_rcp_f32_e32 v1, v1
	s_waitcnt_depctr 0xfff
	v_mul_f32_e32 v1, 0x5f7ffffc, v1
	s_delay_alu instid0(VALU_DEP_1) | instskip(NEXT) | instid1(VALU_DEP_1)
	v_mul_f32_e32 v2, 0x2f800000, v1
	v_trunc_f32_e32 v2, v2
	s_delay_alu instid0(VALU_DEP_1) | instskip(SKIP_1) | instid1(VALU_DEP_2)
	v_fmamk_f32 v1, v2, 0xcf800000, v1
	v_cvt_u32_f32_e32 v2, v2
	v_cvt_u32_f32_e32 v1, v1
	s_delay_alu instid0(VALU_DEP_2) | instskip(NEXT) | instid1(VALU_DEP_2)
	v_readfirstlane_b32 s8, v2
	v_readfirstlane_b32 s9, v1
	s_delay_alu instid0(VALU_DEP_2) | instskip(NEXT) | instid1(VALU_DEP_1)
	s_mul_i32 s16, s10, s8
	s_mul_hi_u32 s18, s10, s9
	s_mul_i32 s17, s11, s9
	s_add_i32 s16, s18, s16
	s_mul_i32 s19, s10, s9
	s_add_i32 s16, s16, s17
	s_mul_hi_u32 s18, s9, s19
	s_mul_hi_u32 s21, s8, s19
	s_mul_i32 s17, s8, s19
	s_mul_hi_u32 s19, s9, s16
	s_mul_i32 s9, s9, s16
	s_mul_hi_u32 s22, s8, s16
	s_add_u32 s9, s18, s9
	s_addc_u32 s18, 0, s19
	s_add_u32 s9, s9, s17
	s_mul_i32 s16, s8, s16
	s_addc_u32 s9, s18, s21
	s_addc_u32 s17, s22, 0
	s_add_u32 s9, s9, s16
	s_addc_u32 s16, 0, s17
	v_add_co_u32 v1, s9, v1, s9
	s_delay_alu instid0(VALU_DEP_1) | instskip(SKIP_1) | instid1(VALU_DEP_1)
	s_cmp_lg_u32 s9, 0
	s_addc_u32 s8, s8, s16
	v_readfirstlane_b32 s9, v1
	s_mul_i32 s16, s10, s8
	s_delay_alu instid0(VALU_DEP_1)
	s_mul_hi_u32 s17, s10, s9
	s_mul_i32 s11, s11, s9
	s_add_i32 s16, s17, s16
	s_mul_i32 s10, s10, s9
	s_add_i32 s16, s16, s11
	s_mul_hi_u32 s17, s8, s10
	s_mul_i32 s18, s8, s10
	s_mul_hi_u32 s10, s9, s10
	s_mul_hi_u32 s19, s9, s16
	s_mul_i32 s9, s9, s16
	s_mul_hi_u32 s11, s8, s16
	s_add_u32 s9, s10, s9
	s_addc_u32 s10, 0, s19
	s_add_u32 s9, s9, s18
	s_mul_i32 s16, s8, s16
	s_addc_u32 s9, s10, s17
	s_addc_u32 s10, s11, 0
	s_add_u32 s9, s9, s16
	s_addc_u32 s10, 0, s10
	v_add_co_u32 v1, s9, v1, s9
	s_delay_alu instid0(VALU_DEP_1) | instskip(SKIP_2) | instid1(SALU_CYCLE_1)
	s_cmp_lg_u32 s9, 0
	s_addc_u32 s16, s8, s10
	s_ashr_i32 s8, s3, 31
	s_add_u32 s10, s12, s8
	s_addc_u32 s11, s3, s8
	v_readfirstlane_b32 s3, v1
	s_mov_b32 s9, s8
	s_delay_alu instid0(SALU_CYCLE_1) | instskip(NEXT) | instid1(SALU_CYCLE_1)
	s_xor_b64 s[10:11], s[10:11], s[8:9]
	s_mul_i32 s18, s10, s16
	s_delay_alu instid0(VALU_DEP_1)
	s_mul_hi_u32 s19, s10, s3
	s_mul_hi_u32 s17, s10, s16
	s_mul_hi_u32 s22, s11, s3
	s_mul_i32 s3, s11, s3
	s_add_u32 s18, s19, s18
	s_addc_u32 s17, 0, s17
	s_mul_hi_u32 s21, s11, s16
	s_add_u32 s3, s18, s3
	s_mul_i32 s16, s11, s16
	s_addc_u32 s3, s17, s22
	s_addc_u32 s17, s21, 0
	s_add_u32 s3, s3, s16
	s_addc_u32 s16, 0, s17
	s_mul_i32 s18, s20, s3
	s_add_u32 s17, s3, 1
	v_sub_co_u32 v1, s10, s10, s18
	s_mul_hi_u32 s18, s20, s3
	s_addc_u32 s19, s16, 0
	s_mul_i32 s21, s20, s16
	s_delay_alu instid0(VALU_DEP_1)
	v_sub_co_u32 v2, s22, v1, s20
	s_add_u32 s23, s3, 2
	s_addc_u32 s24, s16, 0
	s_add_i32 s18, s18, s21
	s_cmp_lg_u32 s10, 0
	v_readfirstlane_b32 s10, v2
	s_subb_u32 s11, s11, s18
	s_cmp_lg_u32 s22, 0
	s_subb_u32 s18, s11, 0
	s_delay_alu instid0(VALU_DEP_1) | instskip(SKIP_4) | instid1(SALU_CYCLE_1)
	s_cmp_ge_u32 s10, s20
	s_cselect_b32 s10, -1, 0
	s_cmp_eq_u32 s18, 0
	v_readfirstlane_b32 s18, v1
	s_cselect_b32 s10, s10, -1
	s_cmp_lg_u32 s10, 0
	s_cselect_b32 s10, s23, s17
	s_cselect_b32 s17, s24, s19
	s_cmp_ge_u32 s18, s20
	s_cselect_b32 s18, -1, 0
	s_cmp_eq_u32 s11, 0
	s_cselect_b32 s11, s18, -1
	s_delay_alu instid0(SALU_CYCLE_1) | instskip(SKIP_2) | instid1(SALU_CYCLE_1)
	s_cmp_lg_u32 s11, 0
	s_cselect_b32 s11, s17, s16
	s_cselect_b32 s10, s10, s3
	s_xor_b64 s[10:11], s[10:11], s[8:9]
	s_delay_alu instid0(SALU_CYCLE_1)
	s_sub_u32 s16, s10, s8
	s_load_b128 s[8:11], s[0:1], 0x44
	s_and_not1_b32 vcc_lo, exec_lo, s2
	s_cbranch_vccnz .LBB30_3
.LBB30_2:
	v_cvt_f32_u32_e32 v1, s20
	s_sub_i32 s3, 0, s20
	s_delay_alu instid0(VALU_DEP_1) | instskip(SKIP_2) | instid1(VALU_DEP_1)
	v_rcp_iflag_f32_e32 v1, v1
	s_waitcnt_depctr 0xfff
	v_mul_f32_e32 v1, 0x4f7ffffe, v1
	v_cvt_u32_f32_e32 v1, v1
	s_delay_alu instid0(VALU_DEP_1) | instskip(NEXT) | instid1(VALU_DEP_1)
	v_readfirstlane_b32 s2, v1
	s_mul_i32 s3, s3, s2
	s_delay_alu instid0(SALU_CYCLE_1) | instskip(NEXT) | instid1(SALU_CYCLE_1)
	s_mul_hi_u32 s3, s2, s3
	s_add_i32 s2, s2, s3
	s_delay_alu instid0(SALU_CYCLE_1) | instskip(NEXT) | instid1(SALU_CYCLE_1)
	s_mul_hi_u32 s2, s12, s2
	s_mul_i32 s3, s2, s20
	s_waitcnt lgkmcnt(0)
	s_add_i32 s11, s2, 1
	s_sub_i32 s3, s12, s3
	s_delay_alu instid0(SALU_CYCLE_1)
	s_sub_i32 s12, s3, s20
	s_cmp_ge_u32 s3, s20
	s_cselect_b32 s2, s11, s2
	s_cselect_b32 s3, s12, s3
	s_add_i32 s11, s2, 1
	s_cmp_ge_u32 s3, s20
	s_cselect_b32 s16, s11, s2
.LBB30_3:
	s_waitcnt lgkmcnt(0)
	s_add_i32 s11, s13, 1
	s_mov_b32 s2, 0
	s_mul_hi_i32 s3, s7, s11
	s_mul_i32 s11, s7, s11
	s_cmp_lg_u64 s[2:3], 0
	s_cbranch_scc0 .LBB30_22
; %bb.4:
	v_cvt_f32_ubyte0_e32 v1, 0
	v_cvt_f32_u32_e32 v2, s20
	s_sub_u32 s18, 0, s20
	s_subb_u32 s19, 0, 0
	s_delay_alu instid0(VALU_DEP_1) | instskip(NEXT) | instid1(VALU_DEP_1)
	v_fmamk_f32 v1, v1, 0x4f800000, v2
	v_rcp_f32_e32 v1, v1
	s_waitcnt_depctr 0xfff
	v_mul_f32_e32 v1, 0x5f7ffffc, v1
	s_delay_alu instid0(VALU_DEP_1) | instskip(NEXT) | instid1(VALU_DEP_1)
	v_mul_f32_e32 v2, 0x2f800000, v1
	v_trunc_f32_e32 v2, v2
	s_delay_alu instid0(VALU_DEP_1) | instskip(SKIP_1) | instid1(VALU_DEP_2)
	v_fmamk_f32 v1, v2, 0xcf800000, v1
	v_cvt_u32_f32_e32 v2, v2
	v_cvt_u32_f32_e32 v1, v1
	s_delay_alu instid0(VALU_DEP_2) | instskip(NEXT) | instid1(VALU_DEP_2)
	v_readfirstlane_b32 s12, v2
	v_readfirstlane_b32 s17, v1
	s_delay_alu instid0(VALU_DEP_2) | instskip(NEXT) | instid1(VALU_DEP_1)
	s_mul_i32 s21, s18, s12
	s_mul_hi_u32 s23, s18, s17
	s_mul_i32 s22, s19, s17
	s_add_i32 s21, s23, s21
	s_mul_i32 s24, s18, s17
	s_add_i32 s21, s21, s22
	s_mul_hi_u32 s23, s17, s24
	s_mul_hi_u32 s25, s12, s24
	s_mul_i32 s22, s12, s24
	s_mul_hi_u32 s24, s17, s21
	s_mul_i32 s17, s17, s21
	s_mul_hi_u32 s26, s12, s21
	s_add_u32 s17, s23, s17
	s_addc_u32 s23, 0, s24
	s_add_u32 s17, s17, s22
	s_mul_i32 s21, s12, s21
	s_addc_u32 s17, s23, s25
	s_addc_u32 s22, s26, 0
	s_add_u32 s17, s17, s21
	s_addc_u32 s21, 0, s22
	v_add_co_u32 v1, s17, v1, s17
	s_delay_alu instid0(VALU_DEP_1) | instskip(SKIP_1) | instid1(VALU_DEP_1)
	s_cmp_lg_u32 s17, 0
	s_addc_u32 s12, s12, s21
	v_readfirstlane_b32 s17, v1
	s_mul_i32 s21, s18, s12
	s_delay_alu instid0(VALU_DEP_1)
	s_mul_hi_u32 s22, s18, s17
	s_mul_i32 s19, s19, s17
	s_add_i32 s21, s22, s21
	s_mul_i32 s18, s18, s17
	s_add_i32 s21, s21, s19
	s_mul_hi_u32 s22, s12, s18
	s_mul_i32 s23, s12, s18
	s_mul_hi_u32 s18, s17, s18
	s_mul_hi_u32 s24, s17, s21
	s_mul_i32 s17, s17, s21
	s_mul_hi_u32 s19, s12, s21
	s_add_u32 s17, s18, s17
	s_addc_u32 s18, 0, s24
	s_add_u32 s17, s17, s23
	s_mul_i32 s21, s12, s21
	s_addc_u32 s17, s18, s22
	s_addc_u32 s18, s19, 0
	s_add_u32 s17, s17, s21
	s_addc_u32 s18, 0, s18
	v_add_co_u32 v1, s17, v1, s17
	s_delay_alu instid0(VALU_DEP_1) | instskip(SKIP_2) | instid1(SALU_CYCLE_1)
	s_cmp_lg_u32 s17, 0
	s_addc_u32 s12, s12, s18
	s_ashr_i32 s18, s3, 31
	s_add_u32 s22, s11, s18
	s_addc_u32 s23, s3, s18
	v_readfirstlane_b32 s3, v1
	s_mov_b32 s19, s18
	s_delay_alu instid0(SALU_CYCLE_1) | instskip(NEXT) | instid1(SALU_CYCLE_1)
	s_xor_b64 s[22:23], s[22:23], s[18:19]
	s_mul_i32 s21, s22, s12
	s_delay_alu instid0(VALU_DEP_1)
	s_mul_hi_u32 s24, s22, s3
	s_mul_hi_u32 s17, s22, s12
	s_mul_hi_u32 s26, s23, s3
	s_mul_i32 s3, s23, s3
	s_add_u32 s21, s24, s21
	s_addc_u32 s17, 0, s17
	s_mul_hi_u32 s25, s23, s12
	s_add_u32 s3, s21, s3
	s_mul_i32 s12, s23, s12
	s_addc_u32 s3, s17, s26
	s_addc_u32 s17, s25, 0
	s_add_u32 s3, s3, s12
	s_addc_u32 s12, 0, s17
	s_mul_i32 s21, s20, s3
	s_add_u32 s17, s3, 1
	v_sub_co_u32 v1, s21, s22, s21
	s_mul_hi_u32 s22, s20, s3
	s_addc_u32 s24, s12, 0
	s_mul_i32 s25, s20, s12
	s_delay_alu instid0(VALU_DEP_1)
	v_sub_co_u32 v2, s26, v1, s20
	s_add_u32 s27, s3, 2
	s_addc_u32 s28, s12, 0
	s_add_i32 s22, s22, s25
	s_cmp_lg_u32 s21, 0
	v_readfirstlane_b32 s21, v2
	s_subb_u32 s22, s23, s22
	s_cmp_lg_u32 s26, 0
	s_subb_u32 s23, s22, 0
	s_delay_alu instid0(VALU_DEP_1) | instskip(SKIP_4) | instid1(SALU_CYCLE_1)
	s_cmp_ge_u32 s21, s20
	s_cselect_b32 s21, -1, 0
	s_cmp_eq_u32 s23, 0
	v_readfirstlane_b32 s23, v1
	s_cselect_b32 s21, s21, -1
	s_cmp_lg_u32 s21, 0
	s_cselect_b32 s17, s27, s17
	s_cselect_b32 s21, s28, s24
	s_cmp_ge_u32 s23, s20
	s_cselect_b32 s23, -1, 0
	s_cmp_eq_u32 s22, 0
	s_cselect_b32 s22, s23, -1
	s_delay_alu instid0(SALU_CYCLE_1) | instskip(SKIP_2) | instid1(SALU_CYCLE_1)
	s_cmp_lg_u32 s22, 0
	s_cselect_b32 s23, s21, s12
	s_cselect_b32 s22, s17, s3
	s_xor_b64 s[22:23], s[22:23], s[18:19]
	s_delay_alu instid0(SALU_CYCLE_1)
	s_sub_u32 s18, s22, s18
	s_and_not1_b32 vcc_lo, exec_lo, s2
	s_cbranch_vccnz .LBB30_6
.LBB30_5:
	v_cvt_f32_u32_e32 v1, s20
	s_sub_i32 s3, 0, s20
	s_delay_alu instid0(VALU_DEP_1) | instskip(SKIP_2) | instid1(VALU_DEP_1)
	v_rcp_iflag_f32_e32 v1, v1
	s_waitcnt_depctr 0xfff
	v_mul_f32_e32 v1, 0x4f7ffffe, v1
	v_cvt_u32_f32_e32 v1, v1
	s_delay_alu instid0(VALU_DEP_1) | instskip(NEXT) | instid1(VALU_DEP_1)
	v_readfirstlane_b32 s2, v1
	s_mul_i32 s3, s3, s2
	s_delay_alu instid0(SALU_CYCLE_1) | instskip(NEXT) | instid1(SALU_CYCLE_1)
	s_mul_hi_u32 s3, s2, s3
	s_add_i32 s2, s2, s3
	s_delay_alu instid0(SALU_CYCLE_1) | instskip(NEXT) | instid1(SALU_CYCLE_1)
	s_mul_hi_u32 s2, s11, s2
	s_mul_i32 s3, s2, s20
	s_delay_alu instid0(SALU_CYCLE_1)
	s_sub_i32 s3, s11, s3
	s_add_i32 s11, s2, 1
	s_sub_i32 s12, s3, s20
	s_cmp_ge_u32 s3, s20
	s_cselect_b32 s2, s11, s2
	s_cselect_b32 s3, s12, s3
	s_add_i32 s11, s2, 1
	s_cmp_ge_u32 s3, s20
	s_cselect_b32 s18, s11, s2
.LBB30_6:
	s_delay_alu instid0(SALU_CYCLE_1) | instskip(SKIP_3) | instid1(SALU_CYCLE_1)
	s_cmp_eq_u32 s16, s18
	s_mul_hi_u32 s2, s16, s8
	s_cselect_b32 s3, -1, 0
	s_add_i32 s2, s2, s16
	s_lshr_b32 s11, s2, s9
	s_delay_alu instid0(SALU_CYCLE_1) | instskip(NEXT) | instid1(SALU_CYCLE_1)
	s_mul_i32 s2, s11, s10
	s_cmp_eq_u32 s2, s16
	s_mul_hi_u32 s2, s18, s8
	s_cselect_b32 s12, -1, 0
	s_add_i32 s2, s2, s18
	s_delay_alu instid0(SALU_CYCLE_1) | instskip(NEXT) | instid1(SALU_CYCLE_1)
	s_lshr_b32 s2, s2, s9
	s_cmp_eq_u32 s11, s2
	s_mul_i32 s2, s2, s10
	s_cselect_b32 s17, -1, 0
	s_cmp_lg_u32 s2, s18
	s_cselect_b32 s2, -1, 0
	s_or_b32 s3, s3, s12
	s_and_b32 s2, s17, s2
	s_delay_alu instid0(SALU_CYCLE_1) | instskip(NEXT) | instid1(SALU_CYCLE_1)
	s_or_b32 s2, s3, s2
	s_and_b32 vcc_lo, exec_lo, s2
	s_cbranch_vccnz .LBB30_24
; %bb.7:
	s_load_b256 s[24:31], s[0:1], 0x20
	s_waitcnt lgkmcnt(0)
	s_mul_hi_u32 s2, s16, s24
	s_delay_alu instid0(SALU_CYCLE_1) | instskip(NEXT) | instid1(SALU_CYCLE_1)
	s_add_i32 s2, s2, s16
	s_lshr_b32 s18, s2, s25
	s_load_b32 s2, s[0:1], 0x40
	s_mul_i32 s3, s18, s26
	s_delay_alu instid0(SALU_CYCLE_1) | instskip(NEXT) | instid1(SALU_CYCLE_1)
	s_sub_i32 s3, s16, s3
	s_mul_hi_u32 s12, s3, s27
	s_delay_alu instid0(SALU_CYCLE_1) | instskip(NEXT) | instid1(SALU_CYCLE_1)
	s_add_i32 s12, s3, s12
	s_lshr_b32 s21, s12, s28
	s_delay_alu instid0(SALU_CYCLE_1) | instskip(NEXT) | instid1(SALU_CYCLE_1)
	s_mul_i32 s12, s21, s29
	s_sub_i32 s3, s3, s12
	s_delay_alu instid0(SALU_CYCLE_1) | instskip(NEXT) | instid1(SALU_CYCLE_1)
	s_mul_hi_u32 s12, s3, s30
	s_add_i32 s12, s3, s12
	s_delay_alu instid0(SALU_CYCLE_1) | instskip(SKIP_3) | instid1(SALU_CYCLE_1)
	s_lshr_b32 s22, s12, s31
	s_mov_b32 s12, 0
	s_waitcnt lgkmcnt(0)
	s_mul_i32 s2, s22, s2
	s_sub_i32 s2, s3, s2
	s_delay_alu instid0(SALU_CYCLE_1) | instskip(NEXT) | instid1(SALU_CYCLE_1)
	s_mul_hi_u32 s3, s2, s8
	s_add_i32 s2, s2, s3
	s_delay_alu instid0(SALU_CYCLE_1) | instskip(NEXT) | instid1(SALU_CYCLE_1)
	s_lshr_b32 s23, s2, s9
	s_lshl_b32 s2, s23, 1
	s_delay_alu instid0(SALU_CYCLE_1) | instskip(NEXT) | instid1(SALU_CYCLE_1)
	s_add_i32 s2, s2, s14
	s_cmp_lt_i32 s2, s4
	s_cselect_b32 s2, -1, 0
	s_add_i32 s3, s22, s15
	s_delay_alu instid0(SALU_CYCLE_1) | instskip(SKIP_1) | instid1(SALU_CYCLE_1)
	s_cmp_lt_i32 s3, s6
	s_cselect_b32 s3, -1, 0
	s_and_b32 s2, s2, s3
	s_delay_alu instid0(SALU_CYCLE_1)
	s_and_not1_b32 vcc_lo, exec_lo, s2
	s_cbranch_vccnz .LBB30_24
; %bb.8:
	s_load_b128 s[0:3], s[0:1], 0x0
	s_lshl_b32 s24, s20, 3
	s_mov_b32 s25, s12
	s_add_i32 s17, s14, s15
	s_lshl_b64 s[24:25], s[24:25], 2
	s_mul_i32 s4, s18, s4
	s_mul_i32 s21, s21, s6
	v_cvt_f32_ubyte0_e32 v4, 0
	v_cvt_f32_u32_e32 v5, s20
	s_waitcnt lgkmcnt(0)
	s_add_u32 s18, s2, s24
	s_addc_u32 s19, s3, s25
	s_add_i32 s4, s4, s14
	s_delay_alu instid0(SALU_CYCLE_1) | instskip(SKIP_4) | instid1(SALU_CYCLE_1)
	s_mul_i32 s4, s4, s5
	s_mul_i32 s5, s5, s23
	s_add_i32 s4, s4, s15
	s_lshl_b32 s5, s5, 9
	s_add_i32 s4, s4, s21
	s_add_i32 s4, s4, s22
	s_delay_alu instid0(SALU_CYCLE_1) | instskip(NEXT) | instid1(SALU_CYCLE_1)
	s_lshl_b32 s4, s4, 8
	s_add_i32 s5, s5, s4
	s_delay_alu instid0(SALU_CYCLE_1) | instskip(SKIP_1) | instid1(VALU_DEP_2)
	v_or_b32_e32 v1, s5, v0
	v_lshl_or_b32 v0, s17, 8, v0
	v_ashrrev_i32_e32 v2, 31, v1
	s_delay_alu instid0(VALU_DEP_1) | instskip(NEXT) | instid1(VALU_DEP_1)
	v_lshlrev_b64 v[1:2], 2, v[1:2]
	v_add_co_u32 v1, vcc_lo, s0, v1
	s_delay_alu instid0(VALU_DEP_2) | instskip(SKIP_1) | instid1(SALU_CYCLE_1)
	v_add_co_ci_u32_e32 v2, vcc_lo, s1, v2, vcc_lo
	s_lshl_b32 s0, s13, 1
	s_add_i32 s0, s0, s17
	global_load_b32 v3, v[1:2], off
	s_ashr_i32 s1, s0, 31
	s_delay_alu instid0(SALU_CYCLE_1) | instskip(NEXT) | instid1(SALU_CYCLE_1)
	s_lshl_b64 s[0:1], s[0:1], 3
	s_add_u32 s0, s2, s0
	s_addc_u32 s1, s3, s1
	s_add_i32 s14, s13, -1
	s_load_b64 s[0:1], s[0:1], 0x0
	v_fmac_f32_e32 v5, 0x4f800000, v4
	s_sub_i32 s6, 0, s20
	s_waitcnt lgkmcnt(0)
	v_mov_b32_e32 v8, s0
	s_delay_alu instid0(VALU_DEP_2) | instskip(SKIP_2) | instid1(VALU_DEP_2)
	v_rcp_f32_e32 v4, v5
	v_cvt_f32_u32_e32 v5, s20
	v_mov_b32_e32 v7, s1
	v_rcp_iflag_f32_e32 v5, v5
	s_waitcnt_depctr 0xfff
	v_mul_f32_e32 v4, 0x5f7ffffc, v4
	s_delay_alu instid0(VALU_DEP_1) | instskip(SKIP_1) | instid1(VALU_DEP_2)
	v_mul_f32_e32 v6, 0x2f800000, v4
	v_mul_f32_e32 v9, 0x4f7ffffe, v5
	v_trunc_f32_e32 v6, v6
	s_delay_alu instid0(VALU_DEP_1) | instskip(SKIP_1) | instid1(VALU_DEP_4)
	v_fmac_f32_e32 v4, 0xcf800000, v6
	v_cvt_u32_f32_e32 v5, v6
	v_cvt_u32_f32_e32 v6, v9
	s_delay_alu instid0(VALU_DEP_3)
	v_cvt_u32_f32_e32 v4, v4
.LBB30_9:                               ; =>This Inner Loop Header: Depth=1
	s_mul_hi_i32 s13, s14, s7
	s_mul_i32 s4, s14, s7
	s_cmp_lg_u64 s[12:13], 0
	s_mov_b32 s5, -1
                                        ; implicit-def: $sgpr0_sgpr1
	s_cbranch_scc0 .LBB30_11
; %bb.10:                               ;   in Loop: Header=BB30_9 Depth=1
	v_readfirstlane_b32 s0, v4
	v_readfirstlane_b32 s1, v5
	s_sub_u32 s5, 0, s20
	s_subb_u32 s15, 0, 0
	s_delay_alu instid0(VALU_DEP_2) | instskip(NEXT) | instid1(VALU_DEP_1)
	s_mul_hi_u32 s21, s5, s0
	s_mul_i32 s22, s5, s1
	s_mul_i32 s23, s15, s0
	s_add_i32 s21, s21, s22
	s_mul_i32 s22, s5, s0
	s_add_i32 s21, s21, s23
	s_mul_hi_u32 s23, s0, s22
	s_mul_i32 s24, s0, s21
	s_mul_hi_u32 s0, s0, s21
	s_add_u32 s23, s23, s24
	s_mul_i32 s25, s1, s22
	s_addc_u32 s0, 0, s0
	s_mul_hi_u32 s22, s1, s22
	s_mul_hi_u32 s24, s1, s21
	s_add_u32 s23, s23, s25
	s_addc_u32 s0, s0, s22
	s_mul_i32 s21, s1, s21
	s_addc_u32 s22, s24, 0
	s_add_u32 s0, s0, s21
	s_addc_u32 s21, 0, s22
	v_add_co_u32 v9, s0, v4, s0
	s_delay_alu instid0(VALU_DEP_1) | instskip(SKIP_1) | instid1(VALU_DEP_1)
	s_cmp_lg_u32 s0, 0
	s_addc_u32 s1, s1, s21
	v_readfirstlane_b32 s0, v9
	s_mul_i32 s21, s5, s1
	s_delay_alu instid0(VALU_DEP_1)
	s_mul_hi_u32 s22, s5, s0
	s_mul_i32 s15, s15, s0
	s_add_i32 s21, s22, s21
	s_mul_i32 s5, s5, s0
	s_add_i32 s21, s21, s15
	s_mul_hi_u32 s15, s1, s5
	s_mul_i32 s23, s1, s5
	s_mul_i32 s24, s0, s21
	s_mul_hi_u32 s5, s0, s5
	s_mul_hi_u32 s0, s0, s21
	s_add_u32 s5, s5, s24
	s_addc_u32 s0, 0, s0
	s_mul_hi_u32 s22, s1, s21
	s_add_u32 s5, s5, s23
	s_addc_u32 s0, s0, s15
	s_mul_i32 s5, s1, s21
	s_addc_u32 s15, s22, 0
	s_add_u32 s0, s0, s5
	s_addc_u32 s5, 0, s15
	v_add_co_u32 v9, s0, v9, s0
	s_delay_alu instid0(VALU_DEP_1) | instskip(SKIP_2) | instid1(SALU_CYCLE_1)
	s_cmp_lg_u32 s0, 0
	s_addc_u32 s5, s1, s5
	s_ashr_i32 s0, s13, 31
	s_add_u32 s22, s4, s0
	s_addc_u32 s23, s13, s0
	v_readfirstlane_b32 s13, v9
	s_mov_b32 s1, s0
	s_delay_alu instid0(SALU_CYCLE_1) | instskip(NEXT) | instid1(SALU_CYCLE_1)
	s_xor_b64 s[22:23], s[22:23], s[0:1]
	s_mul_i32 s15, s22, s5
	s_delay_alu instid0(VALU_DEP_1)
	s_mul_hi_u32 s21, s22, s13
	s_mul_hi_u32 s24, s22, s5
	s_add_u32 s15, s21, s15
	s_mul_i32 s25, s23, s13
	s_addc_u32 s21, 0, s24
	s_mul_hi_u32 s13, s23, s13
	s_mul_hi_u32 s24, s23, s5
	s_add_u32 s15, s15, s25
	s_addc_u32 s13, s21, s13
	s_mul_i32 s5, s23, s5
	s_addc_u32 s15, s24, 0
	s_add_u32 s5, s13, s5
	s_addc_u32 s13, 0, s15
	s_mul_i32 s21, s20, s5
	s_add_u32 s15, s5, 1
	v_sub_co_u32 v9, s21, s22, s21
	s_addc_u32 s22, s13, 0
	s_mul_i32 s25, s20, s13
	s_mul_hi_u32 s27, s20, s5
	s_delay_alu instid0(VALU_DEP_1)
	v_sub_co_u32 v10, s26, v9, s20
	s_add_u32 s24, s5, 2
	s_addc_u32 s28, s13, 0
	s_add_i32 s27, s27, s25
	s_cmp_lg_u32 s21, 0
	v_readfirstlane_b32 s21, v10
	s_subb_u32 s23, s23, s27
	s_cmp_lg_u32 s26, 0
	s_subb_u32 s25, s23, 0
	s_delay_alu instid0(VALU_DEP_1) | instskip(SKIP_4) | instid1(SALU_CYCLE_1)
	s_cmp_ge_u32 s21, s20
	s_cselect_b32 s21, -1, 0
	s_cmp_eq_u32 s25, 0
	v_readfirstlane_b32 s25, v9
	s_cselect_b32 s21, s21, -1
	s_cmp_lg_u32 s21, 0
	s_cselect_b32 s15, s24, s15
	s_cselect_b32 s21, s28, s22
	s_cmp_ge_u32 s25, s20
	s_cselect_b32 s22, -1, 0
	s_cmp_eq_u32 s23, 0
	s_cselect_b32 s22, s22, -1
	s_delay_alu instid0(SALU_CYCLE_1) | instskip(SKIP_4) | instid1(SALU_CYCLE_1)
	s_cmp_lg_u32 s22, 0
	s_cselect_b32 s23, s21, s13
	s_cselect_b32 s22, s15, s5
	s_mov_b32 s5, 0
	s_xor_b64 s[22:23], s[22:23], s[0:1]
	s_sub_u32 s0, s22, s0
.LBB30_11:                              ;   in Loop: Header=BB30_9 Depth=1
	s_and_not1_b32 vcc_lo, exec_lo, s5
	s_cbranch_vccnz .LBB30_13
; %bb.12:                               ;   in Loop: Header=BB30_9 Depth=1
	v_readfirstlane_b32 s0, v6
	s_delay_alu instid0(VALU_DEP_1) | instskip(NEXT) | instid1(SALU_CYCLE_1)
	s_mul_i32 s1, s6, s0
	s_mul_hi_u32 s1, s0, s1
	s_delay_alu instid0(SALU_CYCLE_1) | instskip(NEXT) | instid1(SALU_CYCLE_1)
	s_add_i32 s0, s0, s1
	s_mul_hi_u32 s0, s4, s0
	s_delay_alu instid0(SALU_CYCLE_1) | instskip(NEXT) | instid1(SALU_CYCLE_1)
	s_mul_i32 s1, s0, s20
	s_sub_i32 s1, s4, s1
	s_add_i32 s4, s0, 1
	s_sub_i32 s5, s1, s20
	s_cmp_ge_u32 s1, s20
	s_cselect_b32 s0, s4, s0
	s_cselect_b32 s1, s5, s1
	s_add_i32 s4, s0, 1
	s_cmp_ge_u32 s1, s20
	s_cselect_b32 s0, s4, s0
.LBB30_13:                              ;   in Loop: Header=BB30_9 Depth=1
	s_delay_alu instid0(SALU_CYCLE_1)
	s_cmp_lg_u32 s16, s0
	s_cbranch_scc0 .LBB30_17
; %bb.14:                               ;   in Loop: Header=BB30_9 Depth=1
	s_add_i32 s1, s14, s20
	s_mov_b32 s5, s12
	s_lshl_b32 s1, s1, 1
	s_mov_b32 s15, s16
	s_add_i32 s4, s1, s17
	s_mul_hi_u32 s1, s0, s8
	s_lshl_b64 s[4:5], s[4:5], 3
	s_delay_alu instid0(SALU_CYCLE_1) | instskip(SKIP_2) | instid1(SALU_CYCLE_1)
	s_add_u32 s4, s2, s4
	s_addc_u32 s5, s3, s5
	s_add_i32 s1, s1, s0
	s_lshr_b32 s1, s1, s9
	s_delay_alu instid0(SALU_CYCLE_1) | instskip(NEXT) | instid1(SALU_CYCLE_1)
	s_mul_i32 s13, s1, s10
	s_cmp_eq_u32 s13, s0
	s_cselect_b32 s13, -1, 0
	s_cmp_lt_u32 s1, s11
	s_cselect_b32 s1, -1, 0
	s_delay_alu instid0(SALU_CYCLE_1)
	s_or_b32 s1, s1, s13
	s_mov_b32 s13, -1
	s_and_b32 vcc_lo, exec_lo, s1
	s_mov_b32 s1, s14
	s_cbranch_vccnz .LBB30_16
; %bb.15:                               ;   in Loop: Header=BB30_9 Depth=1
	s_add_i32 s1, s14, -1
	s_mov_b32 s13, 0
	s_mov_b32 s15, s0
.LBB30_16:                              ;   in Loop: Header=BB30_9 Depth=1
	v_lshl_add_u32 v9, s14, 9, v0
	s_load_b64 s[4:5], s[4:5], 0x0
	s_delay_alu instid0(VALU_DEP_1) | instskip(NEXT) | instid1(VALU_DEP_1)
	v_ashrrev_i32_e32 v10, 31, v9
	v_lshlrev_b64 v[9:10], 2, v[9:10]
	s_delay_alu instid0(VALU_DEP_1) | instskip(NEXT) | instid1(VALU_DEP_2)
	v_add_co_u32 v9, vcc_lo, s18, v9
	v_add_co_ci_u32_e32 v10, vcc_lo, s19, v10, vcc_lo
	s_waitcnt lgkmcnt(0)
	v_max_f32_e64 v11, s4, s4
	global_load_b32 v10, v[9:10], off
	v_max_f32_e32 v9, v8, v8
	s_delay_alu instid0(VALU_DEP_1) | instskip(NEXT) | instid1(VALU_DEP_1)
	v_max_f32_e32 v9, v9, v11
	v_sub_f32_e32 v12, v8, v9
	s_delay_alu instid0(VALU_DEP_1) | instskip(NEXT) | instid1(VALU_DEP_1)
	v_dual_mul_f32 v14, 0x3fb8aa3b, v12 :: v_dual_sub_f32 v11, s4, v9
	v_rndne_f32_e32 v18, v14
	s_delay_alu instid0(VALU_DEP_2) | instskip(SKIP_2) | instid1(VALU_DEP_4)
	v_mul_f32_e32 v13, 0x3fb8aa3b, v11
	v_fma_f32 v17, 0x3fb8aa3b, v12, -v14
	v_cmp_ngt_f32_e32 vcc_lo, 0xc2ce8ed0, v11
	v_sub_f32_e32 v14, v14, v18
	s_delay_alu instid0(VALU_DEP_4) | instskip(SKIP_2) | instid1(VALU_DEP_3)
	v_fma_f32 v15, 0x3fb8aa3b, v11, -v13
	v_rndne_f32_e32 v16, v13
	v_fmac_f32_e32 v17, 0x32a5705f, v12
	v_fmac_f32_e32 v15, 0x32a5705f, v11
	s_delay_alu instid0(VALU_DEP_2) | instskip(NEXT) | instid1(VALU_DEP_1)
	v_dual_sub_f32 v13, v13, v16 :: v_dual_add_f32 v14, v14, v17
	v_add_f32_e32 v13, v13, v15
	s_delay_alu instid0(VALU_DEP_2) | instskip(SKIP_2) | instid1(VALU_DEP_3)
	v_exp_f32_e32 v14, v14
	v_cvt_i32_f32_e32 v15, v16
	v_cvt_i32_f32_e32 v16, v18
	v_exp_f32_e32 v13, v13
	s_waitcnt_depctr 0xfff
	v_ldexp_f32 v14, v14, v16
	v_ldexp_f32 v13, v13, v15
	s_delay_alu instid0(VALU_DEP_1) | instskip(SKIP_1) | instid1(VALU_DEP_4)
	v_cndmask_b32_e32 v13, 0, v13, vcc_lo
	v_cmp_ngt_f32_e32 vcc_lo, 0xc2ce8ed0, v12
	v_cndmask_b32_e32 v14, 0, v14, vcc_lo
	v_cmp_nlt_f32_e32 vcc_lo, 0x42b17218, v11
	s_delay_alu instid0(VALU_DEP_4) | instskip(SKIP_1) | instid1(VALU_DEP_4)
	v_cndmask_b32_e32 v13, 0x7f800000, v13, vcc_lo
	v_cmp_nlt_f32_e32 vcc_lo, 0x42b17218, v12
	v_cndmask_b32_e32 v14, 0x7f800000, v14, vcc_lo
	v_cmp_le_f32_e32 vcc_lo, 0xc1a00000, v11
	s_delay_alu instid0(VALU_DEP_4) | instskip(SKIP_1) | instid1(VALU_DEP_4)
	v_cndmask_b32_e32 v11, 0, v13, vcc_lo
	v_cmp_le_f32_e32 vcc_lo, 0xc1a00000, v12
	v_cndmask_b32_e32 v12, 0, v14, vcc_lo
	s_waitcnt vmcnt(0)
	s_delay_alu instid0(VALU_DEP_3) | instskip(NEXT) | instid1(VALU_DEP_1)
	v_mul_f32_e32 v10, v10, v11
	v_dual_mul_f32 v11, s5, v11 :: v_dual_fmac_f32 v10, v3, v12
	s_delay_alu instid0(VALU_DEP_1)
	v_fmac_f32_e32 v11, v7, v12
	s_cbranch_execz .LBB30_18
	s_branch .LBB30_19
.LBB30_17:                              ;   in Loop: Header=BB30_9 Depth=1
                                        ; implicit-def: $sgpr13
                                        ; implicit-def: $vgpr10
                                        ; implicit-def: $vgpr9
                                        ; implicit-def: $vgpr11
                                        ; implicit-def: $sgpr1
                                        ; implicit-def: $sgpr15
.LBB30_18:                              ;   in Loop: Header=BB30_9 Depth=1
	v_mov_b32_e32 v11, v7
	s_waitcnt vmcnt(0)
	v_dual_mov_b32 v9, v8 :: v_dual_mov_b32 v10, v3
	s_add_i32 s1, s14, -1
	s_mov_b32 s13, 0
	s_mov_b32 s15, s16
.LBB30_19:                              ;   in Loop: Header=BB30_9 Depth=1
	s_and_not1_b32 vcc_lo, exec_lo, s13
	s_cbranch_vccz .LBB30_23
; %bb.20:                               ;   in Loop: Header=BB30_9 Depth=1
	v_dual_mov_b32 v7, v11 :: v_dual_mov_b32 v8, v9
	s_waitcnt vmcnt(0)
	v_mov_b32_e32 v3, v10
	s_mov_b32 s16, s15
	s_mov_b32 s14, s1
	s_branch .LBB30_9
.LBB30_21:
                                        ; implicit-def: $sgpr16_sgpr17
	s_load_b128 s[8:11], s[0:1], 0x44
	s_branch .LBB30_2
.LBB30_22:
                                        ; implicit-def: $sgpr18_sgpr19
	s_branch .LBB30_5
.LBB30_23:
	v_div_scale_f32 v0, null, v11, v11, v10
	s_waitcnt vmcnt(0)
	s_delay_alu instid0(VALU_DEP_1) | instskip(SKIP_2) | instid1(VALU_DEP_1)
	v_rcp_f32_e32 v3, v0
	s_waitcnt_depctr 0xfff
	v_fma_f32 v4, -v0, v3, 1.0
	v_fmac_f32_e32 v3, v4, v3
	v_div_scale_f32 v4, vcc_lo, v10, v11, v10
	s_delay_alu instid0(VALU_DEP_1) | instskip(NEXT) | instid1(VALU_DEP_1)
	v_mul_f32_e32 v5, v4, v3
	v_fma_f32 v6, -v0, v5, v4
	s_delay_alu instid0(VALU_DEP_1) | instskip(NEXT) | instid1(VALU_DEP_1)
	v_fmac_f32_e32 v5, v6, v3
	v_fma_f32 v0, -v0, v5, v4
	s_delay_alu instid0(VALU_DEP_1) | instskip(NEXT) | instid1(VALU_DEP_1)
	v_div_fmas_f32 v0, v0, v3, v5
	v_div_fixup_f32 v0, v0, v11, v10
	global_store_b32 v[1:2], v0, off
.LBB30_24:
	s_nop 0
	s_sendmsg sendmsg(MSG_DEALLOC_VGPRS)
	s_endpgm
	.section	.rodata,"a",@progbits
	.p2align	6, 0x0
	.amdhsa_kernel _ZL33flash_attn_stream_k_fixup_generalILi256ELi2ELi1EEvPfPK15HIP_vector_typeIfLj2EEiiiiS1_IjLj3EES5_S5_S5_
		.amdhsa_group_segment_fixed_size 0
		.amdhsa_private_segment_fixed_size 0
		.amdhsa_kernarg_size 336
		.amdhsa_user_sgpr_count 13
		.amdhsa_user_sgpr_dispatch_ptr 0
		.amdhsa_user_sgpr_queue_ptr 0
		.amdhsa_user_sgpr_kernarg_segment_ptr 1
		.amdhsa_user_sgpr_dispatch_id 0
		.amdhsa_user_sgpr_private_segment_size 0
		.amdhsa_wavefront_size32 1
		.amdhsa_uses_dynamic_stack 0
		.amdhsa_enable_private_segment 0
		.amdhsa_system_sgpr_workgroup_id_x 1
		.amdhsa_system_sgpr_workgroup_id_y 1
		.amdhsa_system_sgpr_workgroup_id_z 1
		.amdhsa_system_sgpr_workgroup_info 0
		.amdhsa_system_vgpr_workitem_id 0
		.amdhsa_next_free_vgpr 19
		.amdhsa_next_free_sgpr 32
		.amdhsa_reserve_vcc 1
		.amdhsa_float_round_mode_32 0
		.amdhsa_float_round_mode_16_64 0
		.amdhsa_float_denorm_mode_32 3
		.amdhsa_float_denorm_mode_16_64 3
		.amdhsa_dx10_clamp 1
		.amdhsa_ieee_mode 1
		.amdhsa_fp16_overflow 0
		.amdhsa_workgroup_processor_mode 1
		.amdhsa_memory_ordered 1
		.amdhsa_forward_progress 0
		.amdhsa_shared_vgpr_count 0
		.amdhsa_exception_fp_ieee_invalid_op 0
		.amdhsa_exception_fp_denorm_src 0
		.amdhsa_exception_fp_ieee_div_zero 0
		.amdhsa_exception_fp_ieee_overflow 0
		.amdhsa_exception_fp_ieee_underflow 0
		.amdhsa_exception_fp_ieee_inexact 0
		.amdhsa_exception_int_div_zero 0
	.end_amdhsa_kernel
	.section	.text._ZL33flash_attn_stream_k_fixup_generalILi256ELi2ELi1EEvPfPK15HIP_vector_typeIfLj2EEiiiiS1_IjLj3EES5_S5_S5_,"axG",@progbits,_ZL33flash_attn_stream_k_fixup_generalILi256ELi2ELi1EEvPfPK15HIP_vector_typeIfLj2EEiiiiS1_IjLj3EES5_S5_S5_,comdat
.Lfunc_end30:
	.size	_ZL33flash_attn_stream_k_fixup_generalILi256ELi2ELi1EEvPfPK15HIP_vector_typeIfLj2EEiiiiS1_IjLj3EES5_S5_S5_, .Lfunc_end30-_ZL33flash_attn_stream_k_fixup_generalILi256ELi2ELi1EEvPfPK15HIP_vector_typeIfLj2EEiiiiS1_IjLj3EES5_S5_S5_
                                        ; -- End function
	.section	.AMDGPU.csdata,"",@progbits
; Kernel info:
; codeLenInByte = 3220
; NumSgprs: 34
; NumVgprs: 19
; ScratchSize: 0
; MemoryBound: 0
; FloatMode: 240
; IeeeMode: 1
; LDSByteSize: 0 bytes/workgroup (compile time only)
; SGPRBlocks: 4
; VGPRBlocks: 2
; NumSGPRsForWavesPerEU: 34
; NumVGPRsForWavesPerEU: 19
; Occupancy: 16
; WaveLimiterHint : 0
; COMPUTE_PGM_RSRC2:SCRATCH_EN: 0
; COMPUTE_PGM_RSRC2:USER_SGPR: 13
; COMPUTE_PGM_RSRC2:TRAP_HANDLER: 0
; COMPUTE_PGM_RSRC2:TGID_X_EN: 1
; COMPUTE_PGM_RSRC2:TGID_Y_EN: 1
; COMPUTE_PGM_RSRC2:TGID_Z_EN: 1
; COMPUTE_PGM_RSRC2:TIDIG_COMP_CNT: 0
	.section	.text._ZL18flash_attn_ext_vecILi256ELi2EL9ggml_type30ELS0_1ELb1EEvPKcS2_S2_S2_S2_PKiPfP15HIP_vector_typeIfLj2EEffffjfiS6_IjLj3EEiiiiiiiiiiiliiliiiiil,"axG",@progbits,_ZL18flash_attn_ext_vecILi256ELi2EL9ggml_type30ELS0_1ELb1EEvPKcS2_S2_S2_S2_PKiPfP15HIP_vector_typeIfLj2EEffffjfiS6_IjLj3EEiiiiiiiiiiiliiliiiiil,comdat
	.globl	_ZL18flash_attn_ext_vecILi256ELi2EL9ggml_type30ELS0_1ELb1EEvPKcS2_S2_S2_S2_PKiPfP15HIP_vector_typeIfLj2EEffffjfiS6_IjLj3EEiiiiiiiiiiiliiliiiiil ; -- Begin function _ZL18flash_attn_ext_vecILi256ELi2EL9ggml_type30ELS0_1ELb1EEvPKcS2_S2_S2_S2_PKiPfP15HIP_vector_typeIfLj2EEffffjfiS6_IjLj3EEiiiiiiiiiiiliiliiiiil
	.p2align	8
	.type	_ZL18flash_attn_ext_vecILi256ELi2EL9ggml_type30ELS0_1ELb1EEvPKcS2_S2_S2_S2_PKiPfP15HIP_vector_typeIfLj2EEffffjfiS6_IjLj3EEiiiiiiiiiiiliiliiiiil,@function
_ZL18flash_attn_ext_vecILi256ELi2EL9ggml_type30ELS0_1ELb1EEvPKcS2_S2_S2_S2_PKiPfP15HIP_vector_typeIfLj2EEffffjfiS6_IjLj3EEiiiiiiiiiiiliiliiiiil: ; @_ZL18flash_attn_ext_vecILi256ELi2EL9ggml_type30ELS0_1ELb1EEvPKcS2_S2_S2_S2_PKiPfP15HIP_vector_typeIfLj2EEffffjfiS6_IjLj3EEiiiiiiiiiiiliiliiiiil
; %bb.0:
	s_clause 0x4
	s_load_b64 s[34:35], s[0:1], 0x64
	s_load_b64 s[38:39], s[0:1], 0x80
	;; [unrolled: 1-line block ×3, first 2 shown]
	s_load_b128 s[8:11], s[0:1], 0x40
	s_load_b64 s[36:37], s[0:1], 0x50
	v_mov_b32_e32 v21, 1.0
	s_waitcnt lgkmcnt(0)
	v_cvt_f32_u32_e32 v1, s35
	s_sub_i32 s3, 0, s35
	s_delay_alu instid0(VALU_DEP_1) | instskip(SKIP_2) | instid1(VALU_DEP_1)
	v_rcp_iflag_f32_e32 v1, v1
	s_waitcnt_depctr 0xfff
	v_mul_f32_e32 v1, 0x4f7ffffe, v1
	v_cvt_u32_f32_e32 v1, v1
	s_delay_alu instid0(VALU_DEP_1) | instskip(NEXT) | instid1(VALU_DEP_1)
	v_readfirstlane_b32 s2, v1
	s_mul_i32 s3, s3, s2
	s_delay_alu instid0(SALU_CYCLE_1) | instskip(NEXT) | instid1(SALU_CYCLE_1)
	s_mul_hi_u32 s3, s2, s3
	s_add_i32 s2, s2, s3
	s_delay_alu instid0(SALU_CYCLE_1) | instskip(NEXT) | instid1(SALU_CYCLE_1)
	s_mul_hi_u32 s2, s15, s2
	s_mul_i32 s3, s2, s35
	s_add_i32 s4, s2, 1
	s_sub_i32 s3, s15, s3
	s_delay_alu instid0(SALU_CYCLE_1)
	s_sub_i32 s5, s3, s35
	s_cmp_ge_u32 s3, s35
	s_cselect_b32 s2, s4, s2
	s_cselect_b32 s3, s5, s3
	s_add_i32 s4, s2, 1
	s_cmp_ge_u32 s3, s35
	s_cselect_b32 s33, s4, s2
	s_abs_i32 s2, s39
	s_abs_i32 s6, s35
	v_cvt_f32_u32_e32 v1, s2
	s_sub_i32 s4, 0, s2
	s_xor_b32 s5, s35, s39
	s_delay_alu instid0(SALU_CYCLE_1) | instskip(NEXT) | instid1(VALU_DEP_1)
	s_ashr_i32 s5, s5, 31
	v_rcp_iflag_f32_e32 v1, v1
	s_waitcnt_depctr 0xfff
	v_mul_f32_e32 v1, 0x4f7ffffe, v1
	s_delay_alu instid0(VALU_DEP_1) | instskip(NEXT) | instid1(VALU_DEP_1)
	v_cvt_u32_f32_e32 v1, v1
	v_readfirstlane_b32 s3, v1
	s_delay_alu instid0(VALU_DEP_1) | instskip(NEXT) | instid1(SALU_CYCLE_1)
	s_mul_i32 s4, s4, s3
	s_mul_hi_u32 s4, s3, s4
	s_delay_alu instid0(SALU_CYCLE_1) | instskip(SKIP_4) | instid1(SALU_CYCLE_1)
	s_add_i32 s3, s3, s4
	s_mul_i32 s4, s33, s35
	s_mul_hi_u32 s3, s6, s3
	s_sub_i32 s12, s15, s4
	s_mul_i32 s7, s3, s2
	s_sub_i32 s4, s6, s7
	s_add_i32 s6, s3, 1
	s_sub_i32 s7, s4, s2
	s_cmp_ge_u32 s4, s2
	s_cselect_b32 s3, s6, s3
	s_cselect_b32 s4, s7, s4
	s_add_i32 s6, s3, 1
	s_cmp_ge_u32 s4, s2
	s_cselect_b32 s2, s6, s3
	s_abs_i32 s44, s40
	s_xor_b32 s2, s2, s5
	v_cvt_f32_u32_e32 v1, s44
	s_sub_i32 s42, s2, s5
	v_cmp_le_f32_e64 s2, s9, 0
	s_abs_i32 s45, s42
	s_delay_alu instid0(SALU_CYCLE_1) | instskip(SKIP_1) | instid1(VALU_DEP_2)
	v_cvt_f32_u32_e32 v2, s45
	v_rcp_iflag_f32_e32 v1, v1
	s_and_b32 vcc_lo, exec_lo, s2
	s_delay_alu instid0(VALU_DEP_1) | instskip(SKIP_2) | instid1(VALU_DEP_1)
	v_rcp_iflag_f32_e32 v2, v2
	s_waitcnt_depctr 0xfff
	v_dual_mul_f32 v1, 0x4f7ffffe, v1 :: v_dual_mul_f32 v2, 0x4f7ffffe, v2
	v_cvt_u32_f32_e32 v1, v1
	s_delay_alu instid0(VALU_DEP_2) | instskip(NEXT) | instid1(VALU_DEP_2)
	v_cvt_u32_f32_e32 v2, v2
	v_readfirstlane_b32 s9, v1
	s_delay_alu instid0(VALU_DEP_2)
	v_readfirstlane_b32 s43, v2
	s_cbranch_vccnz .LBB31_2
; %bb.1:
	s_sub_i32 s2, s12, s36
	s_add_i32 s3, s12, 1
	s_lshl_b32 s2, s2, 1
	v_mov_b32_e32 v1, s10
	s_or_b32 s2, s2, 1
	s_cmp_lt_u32 s12, s36
	s_cselect_b32 vcc_lo, -1, 0
	s_delay_alu instid0(VALU_DEP_1)
	v_cndmask_b32_e32 v3, s11, v1, vcc_lo
	s_and_b32 s4, vcc_lo, exec_lo
	s_cselect_b32 s2, s3, s2
	s_mov_b32 s3, 0x3e76c4e1
	v_cvt_f32_i32_e32 v1, s2
	v_cmp_neq_f32_e32 vcc_lo, 1.0, v3
	s_delay_alu instid0(VALU_DEP_2) | instskip(NEXT) | instid1(VALU_DEP_1)
	v_cndmask_b32_e32 v4, 1.0, v1, vcc_lo
	v_cmp_eq_f32_e32 vcc_lo, 0, v4
	v_cndmask_b32_e64 v5, |v3|, 1.0, vcc_lo
	s_delay_alu instid0(VALU_DEP_1) | instskip(NEXT) | instid1(VALU_DEP_1)
	v_frexp_mant_f32_e32 v1, v5
	v_cmp_gt_f32_e64 s2, 0x3f2aaaab, v1
	s_delay_alu instid0(VALU_DEP_1) | instskip(NEXT) | instid1(VALU_DEP_1)
	v_cndmask_b32_e64 v2, 1.0, 2.0, s2
	v_mul_f32_e32 v1, v1, v2
	s_delay_alu instid0(VALU_DEP_1) | instskip(SKIP_1) | instid1(VALU_DEP_2)
	v_add_f32_e32 v2, 1.0, v1
	v_add_f32_e32 v7, -1.0, v1
	v_rcp_f32_e32 v6, v2
	s_waitcnt_depctr 0xfff
	v_mul_f32_e32 v8, v7, v6
	s_delay_alu instid0(VALU_DEP_1) | instskip(NEXT) | instid1(VALU_DEP_1)
	v_dual_add_f32 v9, -1.0, v2 :: v_dual_mul_f32 v10, v2, v8
	v_sub_f32_e32 v1, v1, v9
	v_cndmask_b32_e64 v3, v3, 1.0, vcc_lo
	s_delay_alu instid0(VALU_DEP_3) | instskip(NEXT) | instid1(VALU_DEP_2)
	v_fma_f32 v2, v8, v2, -v10
	v_cmp_eq_f32_e64 s4, 0, v3
	s_delay_alu instid0(VALU_DEP_2) | instskip(NEXT) | instid1(VALU_DEP_1)
	v_fmac_f32_e32 v2, v8, v1
	v_add_f32_e32 v1, v10, v2
	s_delay_alu instid0(VALU_DEP_1) | instskip(NEXT) | instid1(VALU_DEP_1)
	v_dual_sub_f32 v10, v1, v10 :: v_dual_sub_f32 v9, v7, v1
	v_dual_sub_f32 v2, v10, v2 :: v_dual_sub_f32 v7, v7, v9
	s_delay_alu instid0(VALU_DEP_1) | instskip(NEXT) | instid1(VALU_DEP_1)
	v_sub_f32_e32 v1, v7, v1
	v_add_f32_e32 v1, v2, v1
	s_delay_alu instid0(VALU_DEP_1) | instskip(NEXT) | instid1(VALU_DEP_1)
	v_add_f32_e32 v1, v9, v1
	v_mul_f32_e32 v1, v6, v1
	s_delay_alu instid0(VALU_DEP_1) | instskip(NEXT) | instid1(VALU_DEP_1)
	v_add_f32_e32 v6, v8, v1
	v_sub_f32_e32 v2, v6, v8
	v_mul_f32_e32 v7, v6, v6
	s_delay_alu instid0(VALU_DEP_2) | instskip(NEXT) | instid1(VALU_DEP_2)
	v_sub_f32_e32 v8, v1, v2
	v_fma_f32 v9, v6, v6, -v7
	s_delay_alu instid0(VALU_DEP_2) | instskip(NEXT) | instid1(VALU_DEP_1)
	v_add_f32_e32 v1, v8, v8
	v_fmac_f32_e32 v9, v6, v1
	v_cvt_f64_f32_e32 v[1:2], v5
	s_delay_alu instid0(VALU_DEP_2) | instskip(NEXT) | instid1(VALU_DEP_1)
	v_add_f32_e32 v10, v7, v9
	v_fmaak_f32 v11, s3, v10, 0x3e91f4c4
	v_sub_f32_e32 v7, v10, v7
	v_mul_f32_e32 v14, v6, v10
	s_delay_alu instid0(VALU_DEP_3) | instskip(NEXT) | instid1(VALU_DEP_3)
	v_fmaak_f32 v11, v10, v11, 0x3ecccdef
	v_sub_f32_e32 v7, v9, v7
	s_delay_alu instid0(VALU_DEP_2) | instskip(NEXT) | instid1(VALU_DEP_1)
	v_mul_f32_e32 v12, v10, v11
	v_fma_f32 v9, v10, v11, -v12
	s_delay_alu instid0(VALU_DEP_1) | instskip(NEXT) | instid1(VALU_DEP_1)
	v_fmac_f32_e32 v9, v7, v11
	v_add_f32_e32 v11, v12, v9
	v_frexp_exp_i32_f64_e32 v1, v[1:2]
	s_delay_alu instid0(VALU_DEP_2) | instskip(NEXT) | instid1(VALU_DEP_1)
	v_sub_f32_e32 v12, v11, v12
	v_sub_f32_e32 v2, v9, v12
	v_fma_f32 v12, v10, v6, -v14
	s_delay_alu instid0(VALU_DEP_2) | instskip(NEXT) | instid1(VALU_DEP_2)
	v_add_f32_e32 v2, 0x31739010, v2
	v_dual_add_f32 v13, 0x3f2aaaaa, v11 :: v_dual_fmac_f32 v12, v10, v8
	v_ldexp_f32 v8, v8, 1
	s_delay_alu instid0(VALU_DEP_2) | instskip(NEXT) | instid1(VALU_DEP_1)
	v_dual_add_f32 v9, 0xbf2aaaaa, v13 :: v_dual_fmac_f32 v12, v7, v6
	v_sub_f32_e32 v9, v11, v9
	s_delay_alu instid0(VALU_DEP_1) | instskip(NEXT) | instid1(VALU_DEP_3)
	v_add_f32_e32 v2, v2, v9
	v_add_f32_e32 v9, v14, v12
	s_delay_alu instid0(VALU_DEP_2) | instskip(NEXT) | instid1(VALU_DEP_1)
	v_add_f32_e32 v7, v13, v2
	v_sub_f32_e32 v10, v13, v7
	s_delay_alu instid0(VALU_DEP_3) | instskip(SKIP_2) | instid1(VALU_DEP_4)
	v_mul_f32_e32 v11, v9, v7
	v_sub_f32_e32 v13, v9, v14
	v_subrev_co_ci_u32_e64 v1, s2, 0, v1, s2
	v_add_f32_e32 v2, v2, v10
	s_delay_alu instid0(VALU_DEP_4) | instskip(NEXT) | instid1(VALU_DEP_4)
	v_fma_f32 v10, v9, v7, -v11
	v_sub_f32_e32 v12, v12, v13
	s_delay_alu instid0(VALU_DEP_4) | instskip(NEXT) | instid1(VALU_DEP_3)
	v_cvt_f32_i32_e32 v1, v1
	v_fmac_f32_e32 v10, v9, v2
	v_ldexp_f32 v2, v6, 1
	s_delay_alu instid0(VALU_DEP_2) | instskip(NEXT) | instid1(VALU_DEP_1)
	v_fmac_f32_e32 v10, v12, v7
	v_add_f32_e32 v6, v11, v10
	s_delay_alu instid0(VALU_DEP_1) | instskip(NEXT) | instid1(VALU_DEP_1)
	v_add_f32_e32 v7, v2, v6
	v_dual_sub_f32 v2, v7, v2 :: v_dual_sub_f32 v9, v6, v11
	s_delay_alu instid0(VALU_DEP_1) | instskip(NEXT) | instid1(VALU_DEP_2)
	v_sub_f32_e32 v2, v6, v2
	v_sub_f32_e32 v9, v10, v9
	s_delay_alu instid0(VALU_DEP_1) | instskip(NEXT) | instid1(VALU_DEP_1)
	v_add_f32_e32 v6, v8, v9
	v_dual_mul_f32 v11, 0x3f317218, v1 :: v_dual_add_f32 v2, v6, v2
	s_delay_alu instid0(VALU_DEP_1) | instskip(NEXT) | instid1(VALU_DEP_2)
	v_fma_f32 v10, 0x3f317218, v1, -v11
	v_add_f32_e32 v8, v7, v2
	s_delay_alu instid0(VALU_DEP_1) | instskip(NEXT) | instid1(VALU_DEP_1)
	v_sub_f32_e32 v7, v8, v7
	v_dual_fmamk_f32 v1, v1, 0xb102e308, v10 :: v_dual_sub_f32 v2, v2, v7
	s_delay_alu instid0(VALU_DEP_1) | instskip(NEXT) | instid1(VALU_DEP_1)
	v_add_f32_e32 v6, v11, v1
	v_add_f32_e32 v9, v6, v8
	s_delay_alu instid0(VALU_DEP_1) | instskip(NEXT) | instid1(VALU_DEP_1)
	v_dual_sub_f32 v11, v6, v11 :: v_dual_sub_f32 v10, v9, v6
	v_sub_f32_e32 v12, v9, v10
	s_delay_alu instid0(VALU_DEP_2) | instskip(NEXT) | instid1(VALU_DEP_2)
	v_sub_f32_e32 v1, v1, v11
	v_dual_sub_f32 v7, v8, v10 :: v_dual_sub_f32 v6, v6, v12
	s_delay_alu instid0(VALU_DEP_2) | instskip(NEXT) | instid1(VALU_DEP_2)
	v_add_f32_e32 v8, v1, v2
	v_add_f32_e32 v6, v7, v6
	s_delay_alu instid0(VALU_DEP_1) | instskip(NEXT) | instid1(VALU_DEP_1)
	v_add_f32_e32 v6, v8, v6
	v_dual_sub_f32 v7, v8, v1 :: v_dual_add_f32 v10, v9, v6
	s_delay_alu instid0(VALU_DEP_1) | instskip(SKIP_1) | instid1(VALU_DEP_3)
	v_sub_f32_e32 v8, v8, v7
	v_sub_f32_e32 v2, v2, v7
	;; [unrolled: 1-line block ×3, first 2 shown]
	s_delay_alu instid0(VALU_DEP_3) | instskip(NEXT) | instid1(VALU_DEP_1)
	v_sub_f32_e32 v1, v1, v8
	v_add_f32_e32 v1, v2, v1
	s_delay_alu instid0(VALU_DEP_3) | instskip(NEXT) | instid1(VALU_DEP_1)
	v_sub_f32_e32 v2, v6, v7
	v_add_f32_e32 v1, v1, v2
	s_delay_alu instid0(VALU_DEP_1) | instskip(NEXT) | instid1(VALU_DEP_1)
	v_add_f32_e32 v2, v10, v1
	v_mul_f32_e32 v7, v4, v2
	v_sub_f32_e32 v6, v2, v10
	s_delay_alu instid0(VALU_DEP_2) | instskip(NEXT) | instid1(VALU_DEP_2)
	v_fma_f32 v2, v4, v2, -v7
	v_sub_f32_e32 v1, v1, v6
	v_cmp_class_f32_e64 s2, v7, 0x204
	s_delay_alu instid0(VALU_DEP_2) | instskip(NEXT) | instid1(VALU_DEP_1)
	v_fmac_f32_e32 v2, v4, v1
	v_add_f32_e32 v1, v7, v2
	s_delay_alu instid0(VALU_DEP_1) | instskip(NEXT) | instid1(VALU_DEP_1)
	v_cndmask_b32_e64 v6, v1, v7, s2
	v_cmp_eq_f32_e64 s2, 0x42b17218, v6
	s_delay_alu instid0(VALU_DEP_1) | instskip(SKIP_1) | instid1(VALU_DEP_2)
	v_cndmask_b32_e64 v8, 0, 0x37000000, s2
	v_cmp_neq_f32_e64 s2, 0x7f800000, |v6|
	v_sub_f32_e32 v9, v6, v8
	v_trunc_f32_e32 v6, v4
	s_delay_alu instid0(VALU_DEP_2) | instskip(NEXT) | instid1(VALU_DEP_1)
	v_mul_f32_e32 v10, 0x3fb8aa3b, v9
	v_fma_f32 v11, 0x3fb8aa3b, v9, -v10
	v_rndne_f32_e32 v12, v10
	s_delay_alu instid0(VALU_DEP_1) | instskip(NEXT) | instid1(VALU_DEP_1)
	v_dual_fmamk_f32 v11, v9, 0x32a5705f, v11 :: v_dual_sub_f32 v10, v10, v12
	v_add_f32_e32 v10, v10, v11
	v_sub_f32_e32 v1, v1, v7
	v_cvt_i32_f32_e32 v7, v12
	s_delay_alu instid0(VALU_DEP_3) | instskip(NEXT) | instid1(VALU_DEP_2)
	v_exp_f32_e32 v10, v10
	v_sub_f32_e32 v1, v2, v1
	s_delay_alu instid0(VALU_DEP_1)
	v_cndmask_b32_e64 v1, 0, v1, s2
	v_cmp_ngt_f32_e64 s2, 0xc2ce8ed0, v9
	s_waitcnt_depctr 0xfff
	v_ldexp_f32 v2, v10, v7
	v_mul_f32_e32 v7, 0.5, v4
	v_add_f32_e32 v1, v8, v1
	s_delay_alu instid0(VALU_DEP_3) | instskip(NEXT) | instid1(VALU_DEP_3)
	v_cndmask_b32_e64 v2, 0, v2, s2
	v_trunc_f32_e32 v10, v7
	v_cmp_nlt_f32_e64 s2, 0x42b17218, v9
	s_delay_alu instid0(VALU_DEP_2) | instskip(NEXT) | instid1(VALU_DEP_2)
	v_cmp_neq_f32_e64 s3, v10, v7
	v_cndmask_b32_e64 v2, 0x7f800000, v2, s2
	v_cmp_eq_f32_e64 s2, v6, v4
	s_delay_alu instid0(VALU_DEP_2) | instskip(NEXT) | instid1(VALU_DEP_2)
	v_fma_f32 v1, v2, v1, v2
	s_and_b32 vcc_lo, s2, s3
	v_cmp_class_f32_e64 s3, v2, 0x204
	v_cndmask_b32_e32 v6, 1.0, v3, vcc_lo
	s_delay_alu instid0(VALU_DEP_2) | instskip(SKIP_1) | instid1(VALU_DEP_2)
	v_cndmask_b32_e64 v1, v1, v2, s3
	v_cmp_gt_f32_e64 s3, 0, v4
	v_bfi_b32 v1, 0x7fffffff, v1, v6
	v_cndmask_b32_e32 v6, 0, v3, vcc_lo
	s_delay_alu instid0(VALU_DEP_3)
	s_xor_b32 s3, s3, s4
	v_cmp_eq_f32_e32 vcc_lo, 0x7f800000, v5
	v_cndmask_b32_e64 v2, 0x7f800000, 0, s3
	v_cndmask_b32_e64 v4, 0x7fc00000, v1, s2
	v_cmp_gt_f32_e64 s2, 0, v3
	s_or_b32 vcc_lo, vcc_lo, s4
	s_delay_alu instid0(VALU_DEP_3) | instskip(NEXT) | instid1(VALU_DEP_2)
	v_bfi_b32 v2, 0x7fffffff, v2, v6
	v_cndmask_b32_e64 v1, v1, v4, s2
	s_delay_alu instid0(VALU_DEP_1) | instskip(SKIP_1) | instid1(VALU_DEP_2)
	v_cndmask_b32_e32 v1, v1, v2, vcc_lo
	v_cmp_o_f32_e32 vcc_lo, v3, v3
	v_cndmask_b32_e32 v21, 0x7fc00000, v1, vcc_lo
.LBB31_2:
	s_clause 0x1
	s_load_b128 s[4:7], s[0:1], 0x70
	s_load_b512 s[16:31], s[0:1], 0x0
	v_dual_mov_b32 v9, 0 :: v_dual_and_b32 v78, 0x3ff, v0
	s_lshl_b32 s15, s13, 1
	s_mov_b32 s48, 0
	v_dual_mov_b32 v6, 0 :: v_dual_mov_b32 v7, 0
	s_delay_alu instid0(VALU_DEP_2)
	v_dual_mov_b32 v10, v9 :: v_dual_lshlrev_b32 v79, 2, v78
	s_mov_b32 s49, s48
	s_mov_b32 s50, s48
	;; [unrolled: 1-line block ×3, first 2 shown]
	v_dual_mov_b32 v1, s48 :: v_dual_mov_b32 v2, s49
	v_dual_mov_b32 v3, s50 :: v_dual_mov_b32 v4, s51
	v_dual_mov_b32 v11, v9 :: v_dual_and_b32 v88, 28, v79
	s_clause 0x1
	scratch_store_b32 off, v9, off
	scratch_store_b128 off, v[1:4], off offset:4
	s_waitcnt lgkmcnt(0)
	s_mul_i32 s2, s33, s6
	s_mul_i32 s3, s15, s4
	;; [unrolled: 1-line block ×3, first 2 shown]
	s_add_i32 s2, s2, s3
	s_clause 0x1
	scratch_store_b128 off, v[1:4], off offset:20
	scratch_store_b128 off, v[1:4], off offset:36
	s_add_i32 s2, s2, s5
	s_clause 0x1
	scratch_store_b128 off, v[1:4], off offset:52
	scratch_store_b128 off, v[1:4], off offset:68
	s_ashr_i32 s3, s2, 31
	s_add_u32 s2, s16, s2
	s_addc_u32 s3, s17, s3
	s_cmp_lt_i32 s15, s34
	s_clause 0x1
	scratch_store_b128 off, v[1:4], off offset:84
	scratch_store_b128 off, v[1:4], off offset:100
	s_cselect_b32 s40, -1, 0
	s_cmp_ge_i32 s15, s34
	v_dual_mov_b32 v1, 0 :: v_dual_lshlrev_b32 v12, 3, v88
	v_dual_mov_b32 v2, 0 :: v_dual_mov_b32 v3, 0
	v_dual_mov_b32 v4, 0 :: v_dual_mov_b32 v5, 0
	v_mov_b32_e32 v8, 0
	s_cselect_b32 s36, -1, 0
	scratch_store_b96 off, v[9:11], off offset:116
	s_and_b32 vcc_lo, exec_lo, s36
	s_cbranch_vccnz .LBB31_4
; %bb.3:
	s_clause 0x1
	global_load_b128 v[1:4], v12, s[2:3]
	global_load_b128 v[5:8], v12, s[2:3] offset:16
.LBB31_4:
	v_dual_mov_b32 v28, 0 :: v_dual_mov_b32 v29, 0
	v_dual_mov_b32 v30, 0 :: v_dual_mov_b32 v25, 0
	;; [unrolled: 1-line block ×3, first 2 shown]
	v_mov_b32_e32 v24, 0
	s_and_not1_b32 vcc_lo, exec_lo, s40
	s_cbranch_vccnz .LBB31_6
; %bb.5:
	s_clause 0x1
	global_load_b128 v[16:19], v12, s[2:3] offset:256
	global_load_b128 v[31:34], v12, s[2:3] offset:272
	s_waitcnt vmcnt(1)
	v_cvt_f16_f32_e32 v9, v16
	v_cvt_f16_f32_e32 v28, v17
	v_cvt_f16_f32_e32 v29, v18
	v_cvt_f16_f32_e32 v30, v19
	s_waitcnt vmcnt(0)
	v_cvt_f16_f32_e32 v25, v31
	v_cvt_f16_f32_e32 v26, v32
	;; [unrolled: 1-line block ×4, first 2 shown]
.LBB31_6:
	v_dual_mov_b32 v27, 0 :: v_dual_mov_b32 v38, 0
	v_dual_mov_b32 v39, 0 :: v_dual_mov_b32 v40, 0
	;; [unrolled: 1-line block ×4, first 2 shown]
	v_mov_b32_e32 v45, 0
	s_and_not1_b32 vcc_lo, exec_lo, s40
	s_cbranch_vccnz .LBB31_8
; %bb.7:
	s_clause 0x1
	global_load_b128 v[16:19], v12, s[2:3] offset:512
	global_load_b128 v[31:34], v12, s[2:3] offset:528
	s_waitcnt vmcnt(1)
	v_cvt_f16_f32_e32 v38, v16
	v_cvt_f16_f32_e32 v39, v17
	;; [unrolled: 1-line block ×4, first 2 shown]
	s_waitcnt vmcnt(0)
	v_cvt_f16_f32_e32 v42, v31
	v_cvt_f16_f32_e32 v43, v32
	;; [unrolled: 1-line block ×4, first 2 shown]
.LBB31_8:
	v_dual_mov_b32 v31, 0 :: v_dual_mov_b32 v32, 0
	v_dual_mov_b32 v33, 0 :: v_dual_mov_b32 v34, 0
	;; [unrolled: 1-line block ×3, first 2 shown]
	v_mov_b32_e32 v37, 0
	s_and_not1_b32 vcc_lo, exec_lo, s40
	s_cbranch_vccnz .LBB31_10
; %bb.9:
	s_clause 0x1
	global_load_b128 v[16:19], v12, s[2:3] offset:768
	global_load_b128 v[34:37], v12, s[2:3] offset:784
	s_waitcnt vmcnt(1)
	v_cvt_f16_f32_e32 v27, v16
	v_cvt_f16_f32_e32 v31, v17
	;; [unrolled: 1-line block ×4, first 2 shown]
	s_waitcnt vmcnt(0)
	v_cvt_f16_f32_e32 v34, v34
	v_cvt_f16_f32_e32 v35, v35
	;; [unrolled: 1-line block ×4, first 2 shown]
.LBB31_10:
	s_ashr_i32 s5, s4, 31
	s_add_u32 s2, s2, s4
	s_addc_u32 s3, s3, s5
	s_or_b32 s4, s15, 1
	v_dual_mov_b32 v49, 0 :: v_dual_mov_b32 v46, 0
	v_dual_mov_b32 v47, 0 :: v_dual_mov_b32 v48, 0
	;; [unrolled: 1-line block ×4, first 2 shown]
	v_mov_b32_e32 v54, 0
	s_cmp_lt_i32 s4, s34
	s_cselect_b32 s46, -1, 0
	s_cmp_ge_i32 s4, s34
	s_cbranch_scc1 .LBB31_12
; %bb.11:
	s_clause 0x1
	global_load_b128 v[16:19], v12, s[2:3]
	global_load_b128 v[51:54], v12, s[2:3] offset:16
	s_waitcnt vmcnt(1)
	v_cvt_f16_f32_e32 v46, v16
	v_cvt_f16_f32_e32 v47, v17
	;; [unrolled: 1-line block ×4, first 2 shown]
	s_waitcnt vmcnt(0)
	v_cvt_f16_f32_e32 v51, v51
	v_cvt_f16_f32_e32 v52, v52
	v_cvt_f16_f32_e32 v53, v53
	v_cvt_f16_f32_e32 v54, v54
.LBB31_12:
	v_cndmask_b32_e64 v82, 0, 1, s46
	v_dual_mov_b32 v55, 0 :: v_dual_mov_b32 v56, 0
	v_dual_mov_b32 v57, 0 :: v_dual_mov_b32 v58, 0
	;; [unrolled: 1-line block ×3, first 2 shown]
	v_mov_b32_e32 v61, 0
	s_and_not1_b32 vcc_lo, exec_lo, s46
	s_cbranch_vccnz .LBB31_14
; %bb.13:
	s_clause 0x1
	global_load_b128 v[55:58], v12, s[2:3] offset:256
	global_load_b128 v[59:62], v12, s[2:3] offset:272
	s_waitcnt vmcnt(1)
	v_cvt_f16_f32_e32 v49, v55
	v_cvt_f16_f32_e32 v55, v56
	;; [unrolled: 1-line block ×4, first 2 shown]
	s_waitcnt vmcnt(0)
	v_cvt_f16_f32_e32 v58, v59
	v_cvt_f16_f32_e32 v59, v60
	v_cvt_f16_f32_e32 v60, v61
	v_cvt_f16_f32_e32 v61, v62
.LBB31_14:
	v_dual_mov_b32 v62, 0 :: v_dual_mov_b32 v63, 0
	v_dual_mov_b32 v64, 0 :: v_dual_mov_b32 v65, 0
	;; [unrolled: 1-line block ×4, first 2 shown]
	v_mov_b32_e32 v70, 0
	s_and_not1_b32 vcc_lo, exec_lo, s46
	s_cbranch_vccnz .LBB31_16
; %bb.15:
	s_clause 0x1
	global_load_b128 v[63:66], v12, s[2:3] offset:512
	global_load_b128 v[67:70], v12, s[2:3] offset:528
	s_waitcnt vmcnt(1)
	v_cvt_f16_f32_e32 v63, v63
	v_cvt_f16_f32_e32 v64, v64
	;; [unrolled: 1-line block ×4, first 2 shown]
	s_waitcnt vmcnt(0)
	v_cvt_f16_f32_e32 v67, v67
	v_cvt_f16_f32_e32 v68, v68
	;; [unrolled: 1-line block ×4, first 2 shown]
.LBB31_16:
	v_dual_mov_b32 v71, 0 :: v_dual_mov_b32 v72, 0
	v_dual_mov_b32 v73, 0 :: v_dual_mov_b32 v74, 0
	;; [unrolled: 1-line block ×3, first 2 shown]
	v_mov_b32_e32 v77, 0
	s_and_not1_b32 vcc_lo, exec_lo, s46
	s_cbranch_vccnz .LBB31_18
; %bb.17:
	s_clause 0x1
	global_load_b128 v[71:74], v12, s[2:3] offset:768
	global_load_b128 v[10:13], v12, s[2:3] offset:784
	s_waitcnt vmcnt(1)
	v_cvt_f16_f32_e32 v62, v71
	v_cvt_f16_f32_e32 v71, v72
	;; [unrolled: 1-line block ×4, first 2 shown]
	s_waitcnt vmcnt(0)
	v_cvt_f16_f32_e32 v74, v10
	v_cvt_f16_f32_e32 v75, v11
	;; [unrolled: 1-line block ×4, first 2 shown]
.LBB31_18:
	s_cmp_eq_u64 s[26:27], 0
	s_mov_b32 s39, s38
	s_cbranch_scc1 .LBB31_20
; %bb.19:
	s_load_b32 s2, s[0:1], 0xd0
	s_mov_b32 s3, 0
	s_waitcnt lgkmcnt(0)
	s_mul_i32 s2, s2, s33
	s_delay_alu instid0(SALU_CYCLE_1) | instskip(NEXT) | instid1(SALU_CYCLE_1)
	s_add_i32 s2, s2, s13
	s_lshl_b64 s[2:3], s[2:3], 2
	s_delay_alu instid0(SALU_CYCLE_1)
	s_add_u32 s2, s26, s2
	s_addc_u32 s3, s27, s3
	s_load_b32 s39, s[2:3], 0x0
.LBB31_20:
	v_bfe_u32 v81, v0, 10, 10
	s_mov_b32 s27, 0
	s_mov_b32 s2, 0xfeffffff
	;; [unrolled: 1-line block ×4, first 2 shown]
	v_lshlrev_b32_e32 v0, 5, v81
	v_dual_mov_b32 v10, s26 :: v_dual_mov_b32 v11, s27
	v_mbcnt_lo_u32_b32 v91, -1, 0
	s_lshl_b32 s16, s14, 7
	s_delay_alu instid0(VALU_DEP_3) | instskip(SKIP_3) | instid1(VALU_DEP_2)
	v_dual_mov_b32 v13, s3 :: v_dual_add_nc_u32 v80, v0, v78
	v_mov_b32_e32 v12, s2
	s_waitcnt lgkmcnt(0)
	s_cmp_ge_i32 s16, s39
	v_lshlrev_b32_e32 v19, 1, v80
	s_cbranch_scc1 .LBB31_121
; %bb.21:
	s_waitcnt vmcnt(1)
	v_cvt_f16_f32_e32 v1, v1
	v_cvt_f16_f32_e32 v2, v2
	;; [unrolled: 1-line block ×4, first 2 shown]
	s_waitcnt vmcnt(0)
	v_cvt_f16_f32_e32 v7, v7
	v_cvt_f16_f32_e32 v8, v8
	v_perm_b32 v18, v47, v46, 0x5040100
	v_cvt_f16_f32_e32 v47, s8
	v_pack_b32_f16 v1, v1, v2
	v_pack_b32_f16 v2, v3, v4
	;; [unrolled: 1-line block ×3, first 2 shown]
	v_perm_b32 v7, v35, v34, 0x5040100
	v_perm_b32 v8, v37, v36, 0x5040100
	;; [unrolled: 1-line block ×5, first 2 shown]
	v_pk_mul_f16 v52, v47, v7 op_sel_hi:[0,1]
	v_pk_mul_f16 v54, v47, v8 op_sel_hi:[0,1]
	v_xor_b32_e32 v8, 4, v91
	v_and_b32_e32 v7, 24, v91
	v_cvt_f16_f32_e32 v5, v5
	v_cvt_f16_f32_e32 v6, v6
	v_perm_b32 v23, v24, v23, 0x5040100
	v_xor_b32_e32 v24, 1, v91
	v_add_nc_u32_e32 v7, 8, v7
	v_perm_b32 v10, v64, v63, 0x5040100
	v_pack_b32_f16 v3, v5, v6
	v_perm_b32 v6, v33, v32, 0x5040100
	v_pk_mul_f16 v32, v47, v9 op_sel_hi:[0,1]
	v_xor_b32_e32 v9, 2, v91
	v_cmp_lt_i32_e32 vcc_lo, v8, v7
	v_perm_b32 v14, v55, v49, 0x5040100
	v_perm_b32 v49, v73, v72, 0x5040100
	v_pk_mul_f16 v72, v47, v10 op_sel_hi:[0,1]
	v_perm_b32 v10, v39, v38, 0x5040100
	v_cndmask_b32_e32 v8, v91, v8, vcc_lo
	v_cmp_lt_i32_e32 vcc_lo, v9, v7
	v_perm_b32 v38, v41, v40, 0x5040100
	v_perm_b32 v28, v30, v29, 0x5040100
	v_pk_mul_f16 v41, v47, v10 op_sel_hi:[0,1]
	v_dual_cndmask_b32 v9, v91, v9 :: v_dual_and_b32 v10, 0x78, v78
	v_cmp_lt_i32_e32 vcc_lo, v24, v7
	v_perm_b32 v25, v26, v25, 0x5040100
	v_pk_mul_f16 v1, v47, v1 op_sel_hi:[0,1]
	v_pk_mul_f16 v2, v47, v2 op_sel_hi:[0,1]
	;; [unrolled: 1-line block ×3, first 2 shown]
	v_cndmask_b32_e32 v24, v91, v24, vcc_lo
	v_pk_mul_f16 v4, v47, v4 op_sel_hi:[0,1]
	v_lshlrev_b32_e32 v7, 2, v8
	v_lshlrev_b32_e32 v8, 2, v9
	v_perm_b32 v5, v31, v27, 0x5040100
	v_lshlrev_b32_e32 v9, 2, v24
	v_dual_mov_b32 v127, 0xfeffffff :: v_dual_lshlrev_b32 v24, 3, v78
	v_pk_mul_f16 v34, v47, v28 op_sel_hi:[0,1]
	v_pk_mul_f16 v36, v47, v25 op_sel_hi:[0,1]
	v_lshrrev_b32_e32 v25, 16, v1
	s_delay_alu instid0(VALU_DEP_4)
	v_and_b32_e32 v94, 56, v24
	v_lshrrev_b32_e32 v27, 16, v2
	v_cvt_f32_f16_e32 v24, v1
	v_lshrrev_b32_e32 v1, 16, v3
	v_cvt_f32_f16_e32 v26, v2
	v_lshrrev_b32_e32 v2, 16, v4
	v_pk_mul_f16 v23, v47, v23 op_sel_hi:[0,1]
	s_sub_i32 s2, 0, s45
	v_cvt_f32_f16_e32 v29, v1
	v_lshrrev_b32_e32 v1, 16, v32
	v_cvt_f32_f16_e32 v31, v2
	v_lshrrev_b32_e32 v2, 16, v34
	s_sub_i32 s3, 0, s44
	v_perm_b32 v39, v43, v42, 0x5040100
	v_perm_b32 v40, v45, v44, 0x5040100
	v_pk_mul_f16 v42, v47, v38 op_sel_hi:[0,1]
	v_cvt_f32_f16_e32 v33, v1
	v_lshrrev_b32_e32 v1, 16, v36
	v_cvt_f32_f16_e32 v35, v2
	v_lshrrev_b32_e32 v2, 16, v23
	s_mul_i32 s2, s2, s43
	s_mul_i32 s3, s3, s9
	s_mul_hi_u32 s2, s43, s2
	s_mul_hi_u32 s3, s9, s3
	s_abs_i32 s4, s12
	s_add_i32 s43, s43, s2
	s_abs_i32 s7, s33
	s_add_i32 s9, s9, s3
	v_perm_b32 v20, v50, v48, 0x5040100
	v_perm_b32 v48, v71, v62, 0x5040100
	v_pk_mul_f16 v62, v47, v46 op_sel_hi:[0,1]
	v_pk_mul_f16 v44, v47, v39 op_sel_hi:[0,1]
	;; [unrolled: 1-line block ×3, first 2 shown]
	v_cvt_f32_f16_e32 v37, v1
	v_lshrrev_b32_e32 v1, 16, v41
	v_cvt_f32_f16_e32 v39, v2
	v_lshrrev_b32_e32 v2, 16, v42
	s_clause 0x3
	scratch_store_b32 off, v82, off offset:256
	scratch_store_b32 off, v81, off offset:252
	;; [unrolled: 1-line block ×4, first 2 shown]
	s_mul_hi_u32 s2, s4, s43
	s_mul_hi_u32 s13, s7, s9
	s_ashr_i32 s5, s42, 31
	s_clause 0x1
	s_load_b64 s[42:43], s[0:1], 0x8c
	s_load_b128 s[8:11], s[0:1], 0x98
	v_perm_b32 v11, v66, v65, 0x5040100
	v_perm_b32 v12, v68, v67, 0x5040100
	;; [unrolled: 1-line block ×8, first 2 shown]
	v_pk_mul_f16 v5, v47, v5 op_sel_hi:[0,1]
	v_pk_mul_f16 v6, v47, v6 op_sel_hi:[0,1]
	v_cvt_f32_f16_e32 v40, v41
	v_cvt_f32_f16_e32 v41, v1
	v_lshrrev_b32_e32 v1, 16, v44
	v_cvt_f32_f16_e32 v43, v2
	v_lshrrev_b32_e32 v2, 16, v46
	v_pk_mul_f16 v18, v47, v18 op_sel_hi:[0,1]
	v_pk_mul_f16 v20, v47, v20 op_sel_hi:[0,1]
	;; [unrolled: 1-line block ×14, first 2 shown]
	v_cvt_f32_f16_e32 v45, v1
	v_lshrrev_b32_e32 v1, 16, v5
	v_cvt_f32_f16_e32 v47, v2
	v_lshrrev_b32_e32 v2, 16, v6
	s_ashr_i32 s6, s33, 31
	s_waitcnt lgkmcnt(0)
	s_mul_i32 s9, s33, s9
	v_cvt_f32_f16_e32 v49, v1
	v_lshrrev_b32_e32 v1, 16, v52
	v_cvt_f32_f16_e32 v51, v2
	v_lshrrev_b32_e32 v2, 16, v54
	s_mul_hi_u32 s17, s33, s8
	s_ashr_i32 s3, s12, 31
	v_cvt_f32_f16_e32 v53, v1
	v_lshrrev_b32_e32 v1, 16, v18
	v_cvt_f32_f16_e32 v55, v2
	v_lshrrev_b32_e32 v2, 16, v20
	s_add_i32 s9, s17, s9
	s_mul_i32 s17, s6, s8
	v_cvt_f32_f16_e32 v57, v1
	v_lshrrev_b32_e32 v1, 16, v22
	v_cvt_f32_f16_e32 v59, v2
	v_lshrrev_b32_e32 v2, 16, v62
	s_add_i32 s9, s9, s17
	s_mul_i32 s17, s2, s45
	s_xor_b32 s3, s3, s5
	s_sub_i32 s17, s4, s17
	s_load_b64 s[4:5], s[0:1], 0xa8
	s_add_i32 s26, s2, 1
	s_sub_i32 s47, s17, s45
	v_cvt_f32_f16_e32 v61, v1
	v_lshrrev_b32_e32 v1, 16, v14
	v_cvt_f32_f16_e32 v63, v2
	v_lshrrev_b32_e32 v2, 16, v15
	s_cmp_ge_u32 s17, s45
	v_cvt_f32_f16_e32 v28, v3
	s_cselect_b32 s2, s26, s2
	v_lshrrev_b32_e32 v3, 16, v84
	s_cselect_b32 s17, s47, s17
	s_add_i32 s26, s2, 1
	v_cvt_f32_f16_e32 v65, v1
	v_lshrrev_b32_e32 v1, 16, v16
	v_cvt_f32_f16_e32 v67, v2
	v_lshrrev_b32_e32 v2, 16, v17
	s_cmp_ge_u32 s17, s45
	v_cvt_f32_f16_e32 v85, v3
	s_cselect_b32 s2, s26, s2
	v_xor_b32_e32 v3, 8, v91
	s_xor_b32 s2, s2, s3
	v_cvt_f32_f16_e32 v69, v1
	v_lshrrev_b32_e32 v1, 16, v72
	v_cvt_f32_f16_e32 v71, v2
	v_lshrrev_b32_e32 v2, 16, v11
	s_sub_i32 s17, s2, s3
	v_cmp_gt_i32_e32 vcc_lo, 32, v3
	v_add_nc_u32_e32 v92, v0, v10
	s_mul_i32 s2, s17, s43
	s_mul_i32 s3, s33, s8
	v_cvt_f32_f16_e32 v73, v1
	v_cndmask_b32_e32 v3, v91, v3, vcc_lo
	v_lshrrev_b32_e32 v1, 16, v12
	v_cvt_f32_f16_e32 v75, v2
	v_lshrrev_b32_e32 v2, 16, v13
	s_ashr_i32 s8, s2, 31
	s_add_u32 s3, s18, s3
	s_addc_u32 s9, s19, s9
	s_waitcnt lgkmcnt(0)
	s_mul_i32 s5, s33, s5
	s_mul_hi_u32 s18, s33, s4
	v_mul_lo_u32 v95, v92, s42
	s_add_u32 s26, s3, s2
	s_addc_u32 s8, s9, s8
	s_add_i32 s5, s18, s5
	s_mul_i32 s9, s6, s4
	s_mul_i32 s17, s17, s11
	v_cvt_f32_f16_e32 v77, v1
	v_lshrrev_b32_e32 v1, 16, v80
	v_cvt_f32_f16_e32 v79, v2
	v_lshrrev_b32_e32 v2, 16, v82
	s_mul_i32 s4, s33, s4
	s_add_i32 s5, s5, s9
	s_ashr_i32 s9, s17, 31
	s_clause 0x1
	s_load_b64 s[2:3], s[0:1], 0xc8
	s_load_b32 s43, s[0:1], 0xd4
	s_add_u32 s4, s20, s4
	s_addc_u32 s5, s21, s5
	s_mul_i32 s13, s13, s44
	s_add_u32 s4, s4, s17
	v_cvt_f32_f16_e32 v81, v1
	v_cvt_f32_f16_e32 v83, v2
	v_lshrrev_b32_e32 v2, 16, v86
	v_add_nc_u32_e32 v1, s38, v92
	s_addc_u32 s5, s5, s9
	s_sub_i32 s7, s7, s13
	v_cvt_f32_f16_e32 v76, v12
	v_add_nc_u32_e32 v12, s42, v95
	s_sub_i32 s9, s7, s44
	s_cmp_ge_u32 s7, s44
	v_cvt_f32_f16_e32 v87, v2
	v_ashrrev_i32_e32 v2, 31, v1
	s_cselect_b32 s7, s9, s7
	v_cvt_f32_f16_e32 v66, v15
	v_add_nc_u32_e32 v15, s42, v12
	s_sub_i32 s9, s7, s44
	s_cmp_ge_u32 s7, s44
	v_lshlrev_b64 v[1:2], 1, v[1:2]
	s_cselect_b32 s7, s9, s7
	v_cvt_f32_f16_e32 v58, v20
	v_add_nc_u32_e32 v20, s42, v15
	s_xor_b32 s7, s7, s6
	s_clause 0x1
	scratch_store_b32 off, v92, off offset:128
	scratch_store_b32 off, v95, off offset:132
	s_sub_i32 s6, s7, s6
	s_clause 0x1
	scratch_store_b32 off, v78, off offset:240
	scratch_store_b64 off, v[1:2], off offset:232
	v_add_nc_u32_e32 v102, s42, v20
	v_ashrrev_i32_e32 v1, 31, v95
	s_waitcnt lgkmcnt(0)
	s_mul_i32 s3, s6, s3
	s_mul_hi_u32 s7, s6, s2
	s_ashr_i32 s9, s6, 31
	s_add_i32 s3, s7, s3
	s_mul_i32 s9, s9, s2
	s_mul_i32 s6, s6, s2
	s_add_i32 s3, s3, s9
	v_add_nc_u32_e32 v103, s42, v102
	s_clause 0x1
	scratch_store_b32 off, v1, off offset:176
	scratch_store_b32 off, v12, off offset:136
	v_ashrrev_i32_e32 v1, 31, v12
	s_add_u32 s2, s22, s6
	s_mul_i32 s6, s15, s41
	v_lshrrev_b32_e32 v90, 3, v78
	v_cvt_f32_f16_e32 v30, v4
	v_xor_b32_e32 v4, 16, v91
	s_addc_u32 s3, s23, s3
	s_ashr_i32 s7, s6, 31
	s_mov_b32 s17, s27
	s_add_u32 s6, s2, s6
	s_addc_u32 s7, s3, s7
	s_lshl_b64 s[2:3], s[16:17], 1
	v_add_nc_u32_e32 v106, s42, v103
	s_clause 0x1
	scratch_store_b32 off, v1, off offset:180
	scratch_store_b32 off, v15, off offset:148
	v_ashrrev_i32_e32 v1, 31, v15
	s_add_u32 s18, s6, s2
	s_mul_i32 s2, s16, s10
	v_dual_mov_b32 v10, 0 :: v_dual_and_b32 v89, 7, v78
	v_cvt_f32_f16_e32 v48, v5
	v_cmp_gt_i32_e32 vcc_lo, 32, v4
	v_add_nc_u32_e32 v5, v0, v90
	v_or_b32_e32 v0, v0, v90
	s_addc_u32 s19, s7, s3
	s_add_u32 s11, s4, s2
	v_cndmask_b32_e32 v4, v91, v4, vcc_lo
	s_mul_i32 s2, s16, s42
	s_addc_u32 s13, s5, 0
	scratch_store_b32 off, v1, off offset:184 ; 4-byte Folded Spill
	v_add_nc_u32_e32 v1, s42, v106
	s_add_u32 s17, s26, s2
	s_addc_u32 s20, s8, 0
	v_cmp_eq_u32_e64 s2, 0, v89
	v_cvt_f32_f16_e32 v78, v13
	v_cmp_eq_u32_e64 s3, 1, v89
	v_cmp_eq_u32_e64 s4, 2, v89
	;; [unrolled: 1-line block ×7, first 2 shown]
	v_lshlrev_b32_e32 v89, 2, v3
	v_add_nc_u32_e32 v3, 4, v5
	v_mul_lo_u32 v13, v0, s10
	scratch_store_b32 off, v1, off offset:188 ; 4-byte Folded Spill
	v_ashrrev_i32_e32 v1, 31, v1
	v_cvt_f32_f16_e32 v64, v14
	v_mul_lo_u32 v14, v3, s10
	v_add_nc_u32_e32 v3, 8, v5
	s_clause 0x1
	scratch_store_b32 off, v1, off offset:192
	scratch_store_b32 off, v13, off offset:140
	v_ashrrev_i32_e32 v1, 31, v13
	v_cvt_f32_f16_e32 v68, v16
	v_lshlrev_b32_e32 v90, 2, v4
	v_add_nc_u32_e32 v4, 12, v5
	v_mul_lo_u32 v16, v3, s10
	s_clause 0x1
	scratch_store_b32 off, v1, off offset:196
	scratch_store_b32 off, v14, off offset:144
	v_ashrrev_i32_e32 v1, 31, v14
	v_cvt_f32_f16_e32 v70, v17
	v_lshlrev_b32_e32 v91, 1, v0
	v_or_b32_e32 v0, 16, v0
	v_mul_lo_u32 v17, v4, s10
	s_clause 0x1
	scratch_store_b32 off, v1, off offset:200
	scratch_store_b32 off, v16, off offset:152
	v_ashrrev_i32_e32 v1, 31, v16
	v_cvt_f32_f16_e32 v50, v6
	v_cvt_f32_f16_e32 v56, v18
	v_add_nc_u32_e32 v6, 20, v5
	v_mul_lo_u32 v18, v0, s10
	s_clause 0x1
	scratch_store_b32 off, v1, off offset:204
	scratch_store_b32 off, v17, off offset:156
	v_ashrrev_i32_e32 v1, 31, v17
	v_cvt_f32_f16_e32 v74, v11
	v_add_nc_u32_e32 v11, 24, v5
	v_mul_lo_u32 v6, v6, s10
	s_clause 0x1
	scratch_store_b32 off, v1, off offset:208
	scratch_store_b32 off, v18, off offset:160
	v_ashrrev_i32_e32 v1, 31, v18
	v_cvt_f32_f16_e32 v60, v22
	v_mul_lo_u32 v22, v11, s10
	v_add_nc_u32_e32 v0, 28, v5
	s_clause 0x1
	scratch_store_b32 off, v1, off offset:212
	scratch_store_b32 off, v6, off offset:164
	v_ashrrev_i32_e32 v1, 31, v6
	s_cmp_lg_u64 s[22:23], 0
	v_mul_lo_u32 v0, v0, s10
	s_clause 0x1
	scratch_store_b32 off, v1, off offset:216
	scratch_store_b32 off, v22, off offset:168
	v_ashrrev_i32_e32 v1, 31, v22
	s_cselect_b32 s23, -1, 0
	s_ashr_i32 s41, s38, 31
	v_add_co_u32 v3, s38, v92, s38
	s_delay_alu instid0(VALU_DEP_1)
	v_add_co_ci_u32_e64 v4, null, 0, s41, s38
	s_clause 0x1
	scratch_store_b32 off, v1, off offset:220
	scratch_store_b32 off, v0, off offset:172
	v_ashrrev_i32_e32 v0, 31, v0
	v_cvt_f32_f16_e32 v25, v25
	v_lshlrev_b64 v[123:124], 1, v[3:4]
	v_cvt_f32_f16_e32 v27, v27
	v_cvt_f32_f16_e32 v32, v32
	;; [unrolled: 1-line block ×16, first 2 shown]
	v_lshl_add_u32 v93, v5, 1, 0x100
	v_lshlrev_b32_e32 v105, 1, v94
	v_mov_b32_e32 v11, 0
	s_clause 0x1
	scratch_store_b32 off, v0, off offset:224
	scratch_store_b32 off, v88, off offset:260
	v_mov_b32_e32 v4, 0xfeffffff
	v_lshlrev_b32_e32 v0, 2, v88
	s_lshl_b32 s26, s43, 7
	s_mov_b32 s38, 0xbbbac73d
	s_mul_i32 s21, s26, s42
	s_mul_i32 s22, s26, s10
	s_and_b32 s10, s23, s40
	s_and_b32 s23, s23, s46
	scratch_store_b32 off, v0, off offset:228 ; 4-byte Folded Spill
                                        ; implicit-def: $vgpr125
                                        ; implicit-def: $vgpr126
.LBB31_22:                              ; =>This Inner Loop Header: Depth=1
	s_clause 0x1
	scratch_load_b32 v0, off, off offset:228
	scratch_load_b32 v1, off, off offset:176
	s_waitcnt vmcnt(1)
	v_add_co_u32 v133, s40, s17, v0
	scratch_load_b32 v0, off, off offset:132 ; 4-byte Folded Reload
	v_add_co_ci_u32_e64 v134, null, s20, 0, s40
	s_waitcnt vmcnt(0)
	v_add_co_u32 v0, vcc_lo, v133, v0
	s_delay_alu instid0(VALU_DEP_2)
	v_add_co_ci_u32_e32 v1, vcc_lo, v134, v1, vcc_lo
	s_clause 0x3
	global_load_b128 v[129:132], v[0:1], off
	global_load_b128 v[141:144], v[0:1], off offset:128
	global_load_b128 v[149:152], v[0:1], off offset:256
	;; [unrolled: 1-line block ×3, first 2 shown]
	s_waitcnt vmcnt(3)
	v_lshlrev_b32_e32 v128, 16, v130
	v_lshlrev_b32_e32 v13, 16, v129
	v_and_b32_e32 v12, 0xffff0000, v129
	v_and_b32_e32 v136, 0xffff0000, v132
	s_waitcnt vmcnt(2)
	v_and_b32_e32 v138, 0xffff0000, v141
	v_and_b32_e32 v140, 0xffff0000, v142
	v_fma_f32 v0, v13, v24, 0
	s_waitcnt vmcnt(1)
	v_and_b32_e32 v146, 0xffff0000, v149
	v_and_b32_e32 v129, 0xffff0000, v130
	v_lshlrev_b32_e32 v130, 16, v131
	v_and_b32_e32 v148, 0xffff0000, v150
	v_fmac_f32_e32 v0, v12, v25
	s_waitcnt vmcnt(0)
	v_and_b32_e32 v154, 0xffff0000, v157
	v_and_b32_e32 v156, 0xffff0000, v158
	v_lshlrev_b32_e32 v135, 16, v132
                                        ; implicit-def: $vgpr132
	v_lshlrev_b32_e32 v139, 16, v142
	v_fmac_f32_e32 v0, v128, v26
	v_and_b32_e32 v142, 0xffff0000, v143
	v_lshlrev_b32_e32 v137, 16, v141
	v_lshlrev_b32_e32 v141, 16, v143
	s_delay_alu instid0(VALU_DEP_4) | instskip(SKIP_3) | instid1(VALU_DEP_4)
	v_dual_fmac_f32 v0, v129, v27 :: v_dual_lshlrev_b32 v143, 16, v144
	v_and_b32_e32 v131, 0xffff0000, v131
	v_and_b32_e32 v144, 0xffff0000, v144
	v_lshlrev_b32_e32 v145, 16, v149
	v_dual_fmac_f32 v0, v130, v28 :: v_dual_lshlrev_b32 v147, 16, v150
	v_and_b32_e32 v150, 0xffff0000, v151
	v_lshlrev_b32_e32 v149, 16, v151
	v_lshlrev_b32_e32 v151, 16, v152
	v_and_b32_e32 v152, 0xffff0000, v152
	v_fmac_f32_e32 v0, v131, v29
	v_lshlrev_b32_e32 v153, 16, v157
	v_lshlrev_b32_e32 v157, 16, v159
	;; [unrolled: 1-line block ×3, first 2 shown]
	v_and_b32_e32 v158, 0xffff0000, v159
	v_dual_fmac_f32 v0, v135, v30 :: v_dual_lshlrev_b32 v159, 16, v160
	v_and_b32_e32 v160, 0xffff0000, v160
	s_delay_alu instid0(VALU_DEP_2) | instskip(NEXT) | instid1(VALU_DEP_1)
	v_fmac_f32_e32 v0, v136, v31
	v_fmac_f32_e32 v0, v137, v32
	s_delay_alu instid0(VALU_DEP_1) | instskip(NEXT) | instid1(VALU_DEP_1)
	v_fmac_f32_e32 v0, v138, v33
	v_fmac_f32_e32 v0, v139, v34
	s_delay_alu instid0(VALU_DEP_1) | instskip(NEXT) | instid1(VALU_DEP_1)
	;; [unrolled: 3-line block ×11, first 2 shown]
	v_fmac_f32_e32 v0, v53, v158
	v_fmac_f32_e32 v0, v54, v159
	s_delay_alu instid0(VALU_DEP_1)
	v_fmac_f32_e32 v0, v55, v160
	ds_bpermute_b32 v1, v7, v0
	s_waitcnt lgkmcnt(0)
	v_add_f32_e32 v0, v0, v1
	ds_bpermute_b32 v1, v8, v0
	s_waitcnt lgkmcnt(0)
	v_add_f32_e32 v0, v0, v1
	;; [unrolled: 3-line block ×3, first 2 shown]
	s_delay_alu instid0(VALU_DEP_1) | instskip(NEXT) | instid1(VALU_DEP_1)
	v_cmp_ngt_f32_e64 s40, 0x3f200000, |v5|
	s_and_saveexec_b32 s41, s40
	s_delay_alu instid0(SALU_CYCLE_1)
	s_xor_b32 s40, exec_lo, s41
	s_cbranch_execz .LBB31_24
; %bb.23:                               ;   in Loop: Header=BB31_22 Depth=1
	v_add_f32_e64 v0, |v5|, |v5|
	s_delay_alu instid0(VALU_DEP_1) | instskip(SKIP_1) | instid1(VALU_DEP_2)
	v_mul_f32_e32 v1, 0x3fb8aa3b, v0
	v_cmp_ngt_f32_e32 vcc_lo, 0xc2ce8ed0, v0
	v_rndne_f32_e32 v2, v1
	v_fma_f32 v3, 0x3fb8aa3b, v0, -v1
	s_delay_alu instid0(VALU_DEP_2) | instskip(NEXT) | instid1(VALU_DEP_2)
	v_sub_f32_e32 v1, v1, v2
	v_fmac_f32_e32 v3, 0x32a5705f, v0
	v_cvt_i32_f32_e32 v2, v2
	s_delay_alu instid0(VALU_DEP_2) | instskip(NEXT) | instid1(VALU_DEP_1)
	v_add_f32_e32 v1, v1, v3
	v_exp_f32_e32 v1, v1
	s_waitcnt_depctr 0xfff
	v_ldexp_f32 v1, v1, v2
	s_delay_alu instid0(VALU_DEP_1) | instskip(SKIP_1) | instid1(VALU_DEP_2)
	v_cndmask_b32_e32 v1, 0, v1, vcc_lo
	v_cmp_nlt_f32_e32 vcc_lo, 0x42b17218, v0
	v_cndmask_b32_e32 v0, 0x7f800000, v1, vcc_lo
	s_delay_alu instid0(VALU_DEP_1) | instskip(NEXT) | instid1(VALU_DEP_1)
	v_add_f32_e32 v0, 1.0, v0
	v_rcp_f32_e32 v0, v0
	s_waitcnt_depctr 0xfff
	v_fma_f32 v132, v0, -2.0, 1.0
.LBB31_24:                              ;   in Loop: Header=BB31_22 Depth=1
	s_and_not1_saveexec_b32 s40, s40
; %bb.25:                               ;   in Loop: Header=BB31_22 Depth=1
	v_mul_f32_e32 v0, v5, v5
	s_delay_alu instid0(VALU_DEP_1) | instskip(NEXT) | instid1(VALU_DEP_1)
	v_fmaak_f32 v1, s38, v0, 0x3ca908c9
	v_fmaak_f32 v1, v0, v1, 0xbd5c1c4e
	s_delay_alu instid0(VALU_DEP_1) | instskip(NEXT) | instid1(VALU_DEP_1)
	v_fmaak_f32 v1, v0, v1, 0x3e088382
	v_fmaak_f32 v1, v0, v1, 0xbeaaaa99
	s_delay_alu instid0(VALU_DEP_1) | instskip(NEXT) | instid1(VALU_DEP_1)
	v_mul_f32_e64 v1, |v5|, v1
	v_fma_f32 v132, v0, v1, |v5|
; %bb.26:                               ;   in Loop: Header=BB31_22 Depth=1
	s_or_b32 exec_lo, exec_lo, s40
	s_delay_alu instid0(VALU_DEP_1) | instskip(SKIP_1) | instid1(VALU_DEP_1)
	v_bfi_b32 v0, 0x7fffffff, v132, v5
	s_and_not1_b32 vcc_lo, exec_lo, s10
	v_mul_f32_e32 v5, s37, v0
	scratch_load_b32 v0, off, off offset:128 ; 4-byte Folded Reload
	s_waitcnt vmcnt(0)
	v_lshlrev_b32_e32 v132, 1, v0
	s_cbranch_vccnz .LBB31_28
; %bb.27:                               ;   in Loop: Header=BB31_22 Depth=1
	global_load_u16 v0, v132, s[18:19]
	s_waitcnt vmcnt(0)
	v_fma_mix_f32 v5, v21, v0, v5 op_sel_hi:[0,1,0]
.LBB31_28:                              ;   in Loop: Header=BB31_22 Depth=1
	v_fma_f32 v0, v13, v56, 0
                                        ; implicit-def: $vgpr13
	s_delay_alu instid0(VALU_DEP_1) | instskip(NEXT) | instid1(VALU_DEP_1)
	v_fmac_f32_e32 v0, v12, v57
	v_fmac_f32_e32 v0, v128, v58
	s_delay_alu instid0(VALU_DEP_1) | instskip(NEXT) | instid1(VALU_DEP_1)
	v_fmac_f32_e32 v0, v129, v59
	v_fmac_f32_e32 v0, v130, v60
	s_delay_alu instid0(VALU_DEP_1) | instskip(NEXT) | instid1(VALU_DEP_1)
	v_fmac_f32_e32 v0, v131, v61
	v_fmac_f32_e32 v0, v135, v62
	s_delay_alu instid0(VALU_DEP_1) | instskip(NEXT) | instid1(VALU_DEP_1)
	v_fmac_f32_e32 v0, v136, v63
	v_fmac_f32_e32 v0, v137, v64
	s_delay_alu instid0(VALU_DEP_1) | instskip(NEXT) | instid1(VALU_DEP_1)
	v_fmac_f32_e32 v0, v138, v65
	v_fmac_f32_e32 v0, v139, v66
	s_delay_alu instid0(VALU_DEP_1) | instskip(NEXT) | instid1(VALU_DEP_1)
	v_fmac_f32_e32 v0, v140, v67
	v_fmac_f32_e32 v0, v141, v68
	s_delay_alu instid0(VALU_DEP_1) | instskip(NEXT) | instid1(VALU_DEP_1)
	v_fmac_f32_e32 v0, v142, v69
	v_fmac_f32_e32 v0, v143, v70
	s_delay_alu instid0(VALU_DEP_1) | instskip(NEXT) | instid1(VALU_DEP_1)
	v_fmac_f32_e32 v0, v144, v71
	v_fmac_f32_e32 v0, v145, v72
	s_delay_alu instid0(VALU_DEP_1) | instskip(NEXT) | instid1(VALU_DEP_1)
	v_fmac_f32_e32 v0, v146, v73
	v_fmac_f32_e32 v0, v147, v74
	s_delay_alu instid0(VALU_DEP_1) | instskip(NEXT) | instid1(VALU_DEP_1)
	v_fmac_f32_e32 v0, v148, v75
	v_fmac_f32_e32 v0, v149, v76
	s_delay_alu instid0(VALU_DEP_1) | instskip(NEXT) | instid1(VALU_DEP_1)
	v_fmac_f32_e32 v0, v150, v77
	v_fmac_f32_e32 v0, v151, v78
	s_delay_alu instid0(VALU_DEP_1) | instskip(NEXT) | instid1(VALU_DEP_1)
	v_fmac_f32_e32 v0, v152, v79
	v_fmac_f32_e32 v0, v153, v80
	s_delay_alu instid0(VALU_DEP_1) | instskip(NEXT) | instid1(VALU_DEP_1)
	v_fmac_f32_e32 v0, v154, v81
	v_fmac_f32_e32 v0, v155, v82
	s_delay_alu instid0(VALU_DEP_1) | instskip(NEXT) | instid1(VALU_DEP_1)
	v_fmac_f32_e32 v0, v156, v83
	v_fmac_f32_e32 v0, v157, v84
	s_delay_alu instid0(VALU_DEP_1) | instskip(NEXT) | instid1(VALU_DEP_1)
	v_fmac_f32_e32 v0, v158, v85
	v_fmac_f32_e32 v0, v159, v86
	s_delay_alu instid0(VALU_DEP_1)
	v_fmac_f32_e32 v0, v160, v87
	ds_bpermute_b32 v1, v7, v0
	s_waitcnt lgkmcnt(0)
	v_add_f32_e32 v0, v0, v1
	ds_bpermute_b32 v1, v8, v0
	s_waitcnt lgkmcnt(0)
	v_add_f32_e32 v0, v0, v1
	;; [unrolled: 3-line block ×3, first 2 shown]
	s_delay_alu instid0(VALU_DEP_1) | instskip(NEXT) | instid1(VALU_DEP_1)
	v_cmp_ngt_f32_e64 s40, 0x3f200000, |v12|
	s_and_saveexec_b32 s41, s40
	s_delay_alu instid0(SALU_CYCLE_1)
	s_xor_b32 s40, exec_lo, s41
	s_cbranch_execz .LBB31_30
; %bb.29:                               ;   in Loop: Header=BB31_22 Depth=1
	v_add_f32_e64 v0, |v12|, |v12|
	s_delay_alu instid0(VALU_DEP_1) | instskip(SKIP_1) | instid1(VALU_DEP_2)
	v_mul_f32_e32 v1, 0x3fb8aa3b, v0
	v_cmp_ngt_f32_e32 vcc_lo, 0xc2ce8ed0, v0
	v_rndne_f32_e32 v2, v1
	v_fma_f32 v3, 0x3fb8aa3b, v0, -v1
	s_delay_alu instid0(VALU_DEP_2) | instskip(NEXT) | instid1(VALU_DEP_2)
	v_sub_f32_e32 v1, v1, v2
	v_fmac_f32_e32 v3, 0x32a5705f, v0
	v_cvt_i32_f32_e32 v2, v2
	s_delay_alu instid0(VALU_DEP_2) | instskip(NEXT) | instid1(VALU_DEP_1)
	v_add_f32_e32 v1, v1, v3
	v_exp_f32_e32 v1, v1
	s_waitcnt_depctr 0xfff
	v_ldexp_f32 v1, v1, v2
	s_delay_alu instid0(VALU_DEP_1) | instskip(SKIP_1) | instid1(VALU_DEP_2)
	v_cndmask_b32_e32 v1, 0, v1, vcc_lo
	v_cmp_nlt_f32_e32 vcc_lo, 0x42b17218, v0
	v_cndmask_b32_e32 v0, 0x7f800000, v1, vcc_lo
	s_delay_alu instid0(VALU_DEP_1) | instskip(NEXT) | instid1(VALU_DEP_1)
	v_add_f32_e32 v0, 1.0, v0
	v_rcp_f32_e32 v0, v0
	s_waitcnt_depctr 0xfff
	v_fma_f32 v13, v0, -2.0, 1.0
.LBB31_30:                              ;   in Loop: Header=BB31_22 Depth=1
	s_and_not1_saveexec_b32 s40, s40
; %bb.31:                               ;   in Loop: Header=BB31_22 Depth=1
	v_mul_f32_e32 v0, v12, v12
	s_delay_alu instid0(VALU_DEP_1) | instskip(NEXT) | instid1(VALU_DEP_1)
	v_fmaak_f32 v1, s38, v0, 0x3ca908c9
	v_fmaak_f32 v1, v0, v1, 0xbd5c1c4e
	s_delay_alu instid0(VALU_DEP_1) | instskip(NEXT) | instid1(VALU_DEP_1)
	v_fmaak_f32 v1, v0, v1, 0x3e088382
	v_fmaak_f32 v1, v0, v1, 0xbeaaaa99
	s_delay_alu instid0(VALU_DEP_1) | instskip(NEXT) | instid1(VALU_DEP_1)
	v_mul_f32_e64 v1, |v12|, v1
	v_fma_f32 v13, v0, v1, |v12|
; %bb.32:                               ;   in Loop: Header=BB31_22 Depth=1
	s_or_b32 exec_lo, exec_lo, s40
	s_delay_alu instid0(VALU_DEP_1) | instskip(SKIP_1) | instid1(VALU_DEP_1)
	v_bfi_b32 v0, 0x7fffffff, v13, v12
	s_and_not1_b32 vcc_lo, exec_lo, s23
	v_mul_f32_e32 v12, s37, v0
	s_cbranch_vccnz .LBB31_34
; %bb.33:                               ;   in Loop: Header=BB31_22 Depth=1
	scratch_load_b64 v[0:1], off, off offset:232 ; 8-byte Folded Reload
	s_waitcnt vmcnt(0)
	v_add_co_u32 v0, vcc_lo, s18, v0
	v_add_co_ci_u32_e32 v1, vcc_lo, s19, v1, vcc_lo
	global_load_u16 v0, v[0:1], off
	s_waitcnt vmcnt(0)
	v_fma_mix_f32 v12, v21, v0, v12 op_sel_hi:[0,1,0]
.LBB31_34:                              ;   in Loop: Header=BB31_22 Depth=1
	s_clause 0x1
	scratch_load_b32 v0, off, off offset:136
	scratch_load_b32 v1, off, off offset:180
                                        ; implicit-def: $vgpr163
	s_waitcnt vmcnt(1)
	v_add_co_u32 v0, vcc_lo, v133, v0
	s_waitcnt vmcnt(0)
	v_add_co_ci_u32_e32 v1, vcc_lo, v134, v1, vcc_lo
	s_clause 0x3
	global_load_b128 v[135:138], v[0:1], off
	global_load_b128 v[143:146], v[0:1], off offset:128
	global_load_b128 v[151:154], v[0:1], off offset:256
	;; [unrolled: 1-line block ×3, first 2 shown]
	s_waitcnt vmcnt(3)
	v_and_b32_e32 v128, 0xffff0000, v135
	v_lshlrev_b32_e32 v129, 16, v135
	v_lshlrev_b32_e32 v130, 16, v136
	s_waitcnt vmcnt(2)
	v_and_b32_e32 v140, 0xffff0000, v143
	v_and_b32_e32 v142, 0xffff0000, v144
	s_waitcnt vmcnt(1)
	v_and_b32_e32 v148, 0xffff0000, v151
	v_fma_f32 v0, v129, v24, 0
	v_and_b32_e32 v150, 0xffff0000, v152
	s_waitcnt vmcnt(0)
	v_and_b32_e32 v156, 0xffff0000, v159
	v_and_b32_e32 v158, 0xffff0000, v160
	v_dual_fmac_f32 v0, v128, v25 :: v_dual_lshlrev_b32 v139, 16, v143
	v_and_b32_e32 v131, 0xffff0000, v136
	v_and_b32_e32 v136, 0xffff0000, v137
	v_lshlrev_b32_e32 v141, 16, v144
	v_and_b32_e32 v144, 0xffff0000, v145
	v_dual_fmac_f32 v0, v130, v26 :: v_dual_lshlrev_b32 v135, 16, v137
	v_lshlrev_b32_e32 v137, 16, v138
	v_and_b32_e32 v138, 0xffff0000, v138
	s_delay_alu instid0(VALU_DEP_3)
	v_dual_fmac_f32 v0, v131, v27 :: v_dual_lshlrev_b32 v143, 16, v145
	v_lshlrev_b32_e32 v145, 16, v146
	v_and_b32_e32 v146, 0xffff0000, v146
	v_lshlrev_b32_e32 v147, 16, v151
	v_lshlrev_b32_e32 v149, 16, v152
	v_fmac_f32_e32 v0, v135, v28
	v_and_b32_e32 v152, 0xffff0000, v153
	v_lshlrev_b32_e32 v151, 16, v153
	v_lshlrev_b32_e32 v153, 16, v154
	v_and_b32_e32 v154, 0xffff0000, v154
	v_dual_fmac_f32 v0, v136, v29 :: v_dual_lshlrev_b32 v155, 16, v159
	v_lshlrev_b32_e32 v157, 16, v160
	v_and_b32_e32 v160, 0xffff0000, v161
	s_delay_alu instid0(VALU_DEP_3) | instskip(SKIP_2) | instid1(VALU_DEP_3)
	v_dual_fmac_f32 v0, v137, v30 :: v_dual_lshlrev_b32 v159, 16, v161
	v_lshlrev_b32_e32 v161, 16, v162
	v_and_b32_e32 v162, 0xffff0000, v162
	v_fmac_f32_e32 v0, v138, v31
	s_delay_alu instid0(VALU_DEP_1) | instskip(NEXT) | instid1(VALU_DEP_1)
	v_fmac_f32_e32 v0, v139, v32
	v_fmac_f32_e32 v0, v140, v33
	s_delay_alu instid0(VALU_DEP_1) | instskip(NEXT) | instid1(VALU_DEP_1)
	v_fmac_f32_e32 v0, v141, v34
	;; [unrolled: 3-line block ×12, first 2 shown]
	v_fmac_f32_e32 v0, v55, v162
	ds_bpermute_b32 v1, v7, v0
	s_waitcnt lgkmcnt(0)
	v_add_f32_e32 v0, v0, v1
	ds_bpermute_b32 v1, v8, v0
	s_waitcnt lgkmcnt(0)
	v_add_f32_e32 v0, v0, v1
	ds_bpermute_b32 v1, v9, v0
	s_waitcnt lgkmcnt(0)
	v_add_f32_e32 v13, v0, v1
	s_delay_alu instid0(VALU_DEP_1) | instskip(NEXT) | instid1(VALU_DEP_1)
	v_cmp_ngt_f32_e64 s40, 0x3f200000, |v13|
	s_and_saveexec_b32 s41, s40
	s_delay_alu instid0(SALU_CYCLE_1)
	s_xor_b32 s40, exec_lo, s41
	s_cbranch_execz .LBB31_36
; %bb.35:                               ;   in Loop: Header=BB31_22 Depth=1
	v_add_f32_e64 v0, |v13|, |v13|
	s_delay_alu instid0(VALU_DEP_1) | instskip(SKIP_1) | instid1(VALU_DEP_2)
	v_mul_f32_e32 v1, 0x3fb8aa3b, v0
	v_cmp_ngt_f32_e32 vcc_lo, 0xc2ce8ed0, v0
	v_rndne_f32_e32 v2, v1
	v_fma_f32 v3, 0x3fb8aa3b, v0, -v1
	s_delay_alu instid0(VALU_DEP_2) | instskip(NEXT) | instid1(VALU_DEP_2)
	v_sub_f32_e32 v1, v1, v2
	v_fmac_f32_e32 v3, 0x32a5705f, v0
	v_cvt_i32_f32_e32 v2, v2
	s_delay_alu instid0(VALU_DEP_2) | instskip(NEXT) | instid1(VALU_DEP_1)
	v_add_f32_e32 v1, v1, v3
	v_exp_f32_e32 v1, v1
	s_waitcnt_depctr 0xfff
	v_ldexp_f32 v1, v1, v2
	s_delay_alu instid0(VALU_DEP_1) | instskip(SKIP_1) | instid1(VALU_DEP_2)
	v_cndmask_b32_e32 v1, 0, v1, vcc_lo
	v_cmp_nlt_f32_e32 vcc_lo, 0x42b17218, v0
	v_cndmask_b32_e32 v0, 0x7f800000, v1, vcc_lo
	s_delay_alu instid0(VALU_DEP_1) | instskip(NEXT) | instid1(VALU_DEP_1)
	v_add_f32_e32 v0, 1.0, v0
	v_rcp_f32_e32 v0, v0
	s_waitcnt_depctr 0xfff
	v_fma_f32 v163, v0, -2.0, 1.0
.LBB31_36:                              ;   in Loop: Header=BB31_22 Depth=1
	s_and_not1_saveexec_b32 s40, s40
; %bb.37:                               ;   in Loop: Header=BB31_22 Depth=1
	v_mul_f32_e32 v0, v13, v13
	s_delay_alu instid0(VALU_DEP_1) | instskip(NEXT) | instid1(VALU_DEP_1)
	v_fmaak_f32 v1, s38, v0, 0x3ca908c9
	v_fmaak_f32 v1, v0, v1, 0xbd5c1c4e
	s_delay_alu instid0(VALU_DEP_1) | instskip(NEXT) | instid1(VALU_DEP_1)
	v_fmaak_f32 v1, v0, v1, 0x3e088382
	v_fmaak_f32 v1, v0, v1, 0xbeaaaa99
	s_delay_alu instid0(VALU_DEP_1) | instskip(NEXT) | instid1(VALU_DEP_1)
	v_mul_f32_e64 v1, |v13|, v1
	v_fma_f32 v163, v0, v1, |v13|
; %bb.38:                               ;   in Loop: Header=BB31_22 Depth=1
	s_or_b32 exec_lo, exec_lo, s40
	s_delay_alu instid0(VALU_DEP_1) | instskip(SKIP_1) | instid1(VALU_DEP_1)
	v_bfi_b32 v0, 0x7fffffff, v163, v13
	s_and_not1_b32 vcc_lo, exec_lo, s10
	v_mul_f32_e32 v13, s37, v0
	s_cbranch_vccnz .LBB31_40
; %bb.39:                               ;   in Loop: Header=BB31_22 Depth=1
	global_load_u16 v0, v132, s[18:19] offset:2
	s_waitcnt vmcnt(0)
	v_fma_mix_f32 v13, v21, v0, v13 op_sel_hi:[0,1,0]
.LBB31_40:                              ;   in Loop: Header=BB31_22 Depth=1
	v_fma_f32 v0, v129, v56, 0
                                        ; implicit-def: $vgpr129
	s_delay_alu instid0(VALU_DEP_1) | instskip(NEXT) | instid1(VALU_DEP_1)
	v_fmac_f32_e32 v0, v128, v57
	v_fmac_f32_e32 v0, v130, v58
	s_delay_alu instid0(VALU_DEP_1) | instskip(NEXT) | instid1(VALU_DEP_1)
	v_fmac_f32_e32 v0, v131, v59
	v_fmac_f32_e32 v0, v135, v60
	;; [unrolled: 3-line block ×15, first 2 shown]
	s_delay_alu instid0(VALU_DEP_1)
	v_fmac_f32_e32 v0, v162, v87
	ds_bpermute_b32 v1, v7, v0
	s_waitcnt lgkmcnt(0)
	v_add_f32_e32 v0, v0, v1
	ds_bpermute_b32 v1, v8, v0
	s_waitcnt lgkmcnt(0)
	v_add_f32_e32 v0, v0, v1
	;; [unrolled: 3-line block ×3, first 2 shown]
	s_delay_alu instid0(VALU_DEP_1) | instskip(NEXT) | instid1(VALU_DEP_1)
	v_cmp_ngt_f32_e64 s40, 0x3f200000, |v128|
	s_and_saveexec_b32 s41, s40
	s_delay_alu instid0(SALU_CYCLE_1)
	s_xor_b32 s40, exec_lo, s41
	s_cbranch_execz .LBB31_42
; %bb.41:                               ;   in Loop: Header=BB31_22 Depth=1
	v_add_f32_e64 v0, |v128|, |v128|
	s_delay_alu instid0(VALU_DEP_1) | instskip(SKIP_1) | instid1(VALU_DEP_2)
	v_mul_f32_e32 v1, 0x3fb8aa3b, v0
	v_cmp_ngt_f32_e32 vcc_lo, 0xc2ce8ed0, v0
	v_rndne_f32_e32 v2, v1
	v_fma_f32 v3, 0x3fb8aa3b, v0, -v1
	s_delay_alu instid0(VALU_DEP_2) | instskip(NEXT) | instid1(VALU_DEP_2)
	v_sub_f32_e32 v1, v1, v2
	v_fmac_f32_e32 v3, 0x32a5705f, v0
	v_cvt_i32_f32_e32 v2, v2
	s_delay_alu instid0(VALU_DEP_2) | instskip(NEXT) | instid1(VALU_DEP_1)
	v_add_f32_e32 v1, v1, v3
	v_exp_f32_e32 v1, v1
	s_waitcnt_depctr 0xfff
	v_ldexp_f32 v1, v1, v2
	s_delay_alu instid0(VALU_DEP_1) | instskip(SKIP_1) | instid1(VALU_DEP_2)
	v_cndmask_b32_e32 v1, 0, v1, vcc_lo
	v_cmp_nlt_f32_e32 vcc_lo, 0x42b17218, v0
	v_cndmask_b32_e32 v0, 0x7f800000, v1, vcc_lo
	s_delay_alu instid0(VALU_DEP_1) | instskip(NEXT) | instid1(VALU_DEP_1)
	v_add_f32_e32 v0, 1.0, v0
	v_rcp_f32_e32 v0, v0
	s_waitcnt_depctr 0xfff
	v_fma_f32 v129, v0, -2.0, 1.0
.LBB31_42:                              ;   in Loop: Header=BB31_22 Depth=1
	s_and_not1_saveexec_b32 s40, s40
; %bb.43:                               ;   in Loop: Header=BB31_22 Depth=1
	v_mul_f32_e32 v0, v128, v128
	s_delay_alu instid0(VALU_DEP_1) | instskip(NEXT) | instid1(VALU_DEP_1)
	v_fmaak_f32 v1, s38, v0, 0x3ca908c9
	v_fmaak_f32 v1, v0, v1, 0xbd5c1c4e
	s_delay_alu instid0(VALU_DEP_1) | instskip(NEXT) | instid1(VALU_DEP_1)
	v_fmaak_f32 v1, v0, v1, 0x3e088382
	v_fmaak_f32 v1, v0, v1, 0xbeaaaa99
	s_delay_alu instid0(VALU_DEP_1) | instskip(NEXT) | instid1(VALU_DEP_1)
	v_mul_f32_e64 v1, |v128|, v1
	v_fma_f32 v129, v0, v1, |v128|
; %bb.44:                               ;   in Loop: Header=BB31_22 Depth=1
	s_or_b32 exec_lo, exec_lo, s40
	s_delay_alu instid0(VALU_DEP_1) | instskip(SKIP_1) | instid1(VALU_DEP_1)
	v_bfi_b32 v0, 0x7fffffff, v129, v128
	s_and_not1_b32 vcc_lo, exec_lo, s23
	v_mul_f32_e32 v128, s37, v0
	s_cbranch_vccnz .LBB31_46
; %bb.45:                               ;   in Loop: Header=BB31_22 Depth=1
	v_add_co_u32 v0, vcc_lo, s18, v123
	v_add_co_ci_u32_e32 v1, vcc_lo, s19, v124, vcc_lo
	global_load_u16 v0, v[0:1], off offset:2
	s_waitcnt vmcnt(0)
	v_fma_mix_f32 v128, v21, v0, v128 op_sel_hi:[0,1,0]
.LBB31_46:                              ;   in Loop: Header=BB31_22 Depth=1
	s_clause 0x1
	scratch_load_b32 v0, off, off offset:148
	scratch_load_b32 v1, off, off offset:184
                                        ; implicit-def: $vgpr165
	s_waitcnt vmcnt(1)
	v_add_co_u32 v0, vcc_lo, v133, v0
	s_waitcnt vmcnt(0)
	v_add_co_ci_u32_e32 v1, vcc_lo, v134, v1, vcc_lo
	s_clause 0x3
	global_load_b128 v[137:140], v[0:1], off
	global_load_b128 v[145:148], v[0:1], off offset:128
	global_load_b128 v[153:156], v[0:1], off offset:256
	;; [unrolled: 1-line block ×3, first 2 shown]
	s_waitcnt vmcnt(3)
	v_and_b32_e32 v130, 0xffff0000, v137
	v_lshlrev_b32_e32 v135, 16, v138
	v_lshlrev_b32_e32 v131, 16, v137
	v_and_b32_e32 v136, 0xffff0000, v138
	v_and_b32_e32 v138, 0xffff0000, v139
	v_lshlrev_b32_e32 v137, 16, v139
	s_waitcnt vmcnt(2)
	v_and_b32_e32 v142, 0xffff0000, v145
	v_fma_f32 v0, v131, v24, 0
	v_and_b32_e32 v144, 0xffff0000, v146
	s_waitcnt vmcnt(1)
	v_and_b32_e32 v150, 0xffff0000, v153
	v_and_b32_e32 v152, 0xffff0000, v154
	s_waitcnt vmcnt(0)
	v_and_b32_e32 v158, 0xffff0000, v161
	v_fmac_f32_e32 v0, v130, v25
	v_and_b32_e32 v160, 0xffff0000, v162
	v_lshlrev_b32_e32 v139, 16, v140
	v_and_b32_e32 v140, 0xffff0000, v140
	s_delay_alu instid0(VALU_DEP_4) | instskip(SKIP_3) | instid1(VALU_DEP_4)
	v_dual_fmac_f32 v0, v135, v26 :: v_dual_lshlrev_b32 v141, 16, v145
	v_lshlrev_b32_e32 v145, 16, v147
	v_lshlrev_b32_e32 v143, 16, v146
	v_and_b32_e32 v146, 0xffff0000, v147
	v_dual_fmac_f32 v0, v136, v27 :: v_dual_lshlrev_b32 v149, 16, v153
	v_lshlrev_b32_e32 v147, 16, v148
	v_and_b32_e32 v148, 0xffff0000, v148
	v_lshlrev_b32_e32 v153, 16, v155
	s_delay_alu instid0(VALU_DEP_4)
	v_dual_fmac_f32 v0, v137, v28 :: v_dual_lshlrev_b32 v151, 16, v154
	v_and_b32_e32 v154, 0xffff0000, v155
	v_lshlrev_b32_e32 v157, 16, v161
	v_lshlrev_b32_e32 v155, 16, v156
	v_and_b32_e32 v156, 0xffff0000, v156
	v_dual_fmac_f32 v0, v138, v29 :: v_dual_lshlrev_b32 v161, 16, v163
	v_lshlrev_b32_e32 v159, 16, v162
	v_and_b32_e32 v162, 0xffff0000, v163
	s_delay_alu instid0(VALU_DEP_3) | instskip(SKIP_1) | instid1(VALU_DEP_2)
	v_dual_fmac_f32 v0, v139, v30 :: v_dual_lshlrev_b32 v163, 16, v164
	v_and_b32_e32 v164, 0xffff0000, v164
	v_fmac_f32_e32 v0, v140, v31
	s_delay_alu instid0(VALU_DEP_1) | instskip(NEXT) | instid1(VALU_DEP_1)
	v_fmac_f32_e32 v0, v141, v32
	v_fmac_f32_e32 v0, v142, v33
	s_delay_alu instid0(VALU_DEP_1) | instskip(NEXT) | instid1(VALU_DEP_1)
	v_fmac_f32_e32 v0, v143, v34
	;; [unrolled: 3-line block ×12, first 2 shown]
	v_fmac_f32_e32 v0, v55, v164
	ds_bpermute_b32 v1, v7, v0
	s_waitcnt lgkmcnt(0)
	v_add_f32_e32 v0, v0, v1
	ds_bpermute_b32 v1, v8, v0
	s_waitcnt lgkmcnt(0)
	v_add_f32_e32 v0, v0, v1
	;; [unrolled: 3-line block ×3, first 2 shown]
	s_delay_alu instid0(VALU_DEP_1) | instskip(NEXT) | instid1(VALU_DEP_1)
	v_cmp_ngt_f32_e64 s40, 0x3f200000, |v129|
	s_and_saveexec_b32 s41, s40
	s_delay_alu instid0(SALU_CYCLE_1)
	s_xor_b32 s40, exec_lo, s41
	s_cbranch_execz .LBB31_48
; %bb.47:                               ;   in Loop: Header=BB31_22 Depth=1
	v_add_f32_e64 v0, |v129|, |v129|
	s_delay_alu instid0(VALU_DEP_1) | instskip(SKIP_1) | instid1(VALU_DEP_2)
	v_mul_f32_e32 v1, 0x3fb8aa3b, v0
	v_cmp_ngt_f32_e32 vcc_lo, 0xc2ce8ed0, v0
	v_rndne_f32_e32 v2, v1
	v_fma_f32 v3, 0x3fb8aa3b, v0, -v1
	s_delay_alu instid0(VALU_DEP_2) | instskip(NEXT) | instid1(VALU_DEP_2)
	v_sub_f32_e32 v1, v1, v2
	v_fmac_f32_e32 v3, 0x32a5705f, v0
	v_cvt_i32_f32_e32 v2, v2
	s_delay_alu instid0(VALU_DEP_2) | instskip(NEXT) | instid1(VALU_DEP_1)
	v_add_f32_e32 v1, v1, v3
	v_exp_f32_e32 v1, v1
	s_waitcnt_depctr 0xfff
	v_ldexp_f32 v1, v1, v2
	s_delay_alu instid0(VALU_DEP_1) | instskip(SKIP_1) | instid1(VALU_DEP_2)
	v_cndmask_b32_e32 v1, 0, v1, vcc_lo
	v_cmp_nlt_f32_e32 vcc_lo, 0x42b17218, v0
	v_cndmask_b32_e32 v0, 0x7f800000, v1, vcc_lo
	s_delay_alu instid0(VALU_DEP_1) | instskip(NEXT) | instid1(VALU_DEP_1)
	v_add_f32_e32 v0, 1.0, v0
	v_rcp_f32_e32 v0, v0
	s_waitcnt_depctr 0xfff
	v_fma_f32 v165, v0, -2.0, 1.0
.LBB31_48:                              ;   in Loop: Header=BB31_22 Depth=1
	s_and_not1_saveexec_b32 s40, s40
; %bb.49:                               ;   in Loop: Header=BB31_22 Depth=1
	v_mul_f32_e32 v0, v129, v129
	s_delay_alu instid0(VALU_DEP_1) | instskip(NEXT) | instid1(VALU_DEP_1)
	v_fmaak_f32 v1, s38, v0, 0x3ca908c9
	v_fmaak_f32 v1, v0, v1, 0xbd5c1c4e
	s_delay_alu instid0(VALU_DEP_1) | instskip(NEXT) | instid1(VALU_DEP_1)
	v_fmaak_f32 v1, v0, v1, 0x3e088382
	v_fmaak_f32 v1, v0, v1, 0xbeaaaa99
	s_delay_alu instid0(VALU_DEP_1) | instskip(NEXT) | instid1(VALU_DEP_1)
	v_mul_f32_e64 v1, |v129|, v1
	v_fma_f32 v165, v0, v1, |v129|
; %bb.50:                               ;   in Loop: Header=BB31_22 Depth=1
	s_or_b32 exec_lo, exec_lo, s40
	s_delay_alu instid0(VALU_DEP_1) | instskip(SKIP_1) | instid1(VALU_DEP_1)
	v_bfi_b32 v0, 0x7fffffff, v165, v129
	s_and_not1_b32 vcc_lo, exec_lo, s10
	v_mul_f32_e32 v129, s37, v0
	s_cbranch_vccnz .LBB31_52
; %bb.51:                               ;   in Loop: Header=BB31_22 Depth=1
	global_load_u16 v0, v132, s[18:19] offset:4
	s_waitcnt vmcnt(0)
	v_fma_mix_f32 v129, v21, v0, v129 op_sel_hi:[0,1,0]
.LBB31_52:                              ;   in Loop: Header=BB31_22 Depth=1
	v_fma_f32 v0, v131, v56, 0
                                        ; implicit-def: $vgpr131
	s_delay_alu instid0(VALU_DEP_1) | instskip(NEXT) | instid1(VALU_DEP_1)
	v_fmac_f32_e32 v0, v130, v57
	v_fmac_f32_e32 v0, v135, v58
	s_delay_alu instid0(VALU_DEP_1) | instskip(NEXT) | instid1(VALU_DEP_1)
	v_fmac_f32_e32 v0, v136, v59
	v_fmac_f32_e32 v0, v137, v60
	;; [unrolled: 3-line block ×15, first 2 shown]
	s_delay_alu instid0(VALU_DEP_1)
	v_fmac_f32_e32 v0, v164, v87
	ds_bpermute_b32 v1, v7, v0
	s_waitcnt lgkmcnt(0)
	v_add_f32_e32 v0, v0, v1
	ds_bpermute_b32 v1, v8, v0
	s_waitcnt lgkmcnt(0)
	v_add_f32_e32 v0, v0, v1
	;; [unrolled: 3-line block ×3, first 2 shown]
	s_delay_alu instid0(VALU_DEP_1) | instskip(NEXT) | instid1(VALU_DEP_1)
	v_cmp_ngt_f32_e64 s40, 0x3f200000, |v130|
	s_and_saveexec_b32 s41, s40
	s_delay_alu instid0(SALU_CYCLE_1)
	s_xor_b32 s40, exec_lo, s41
	s_cbranch_execz .LBB31_54
; %bb.53:                               ;   in Loop: Header=BB31_22 Depth=1
	v_add_f32_e64 v0, |v130|, |v130|
	s_delay_alu instid0(VALU_DEP_1) | instskip(SKIP_1) | instid1(VALU_DEP_2)
	v_mul_f32_e32 v1, 0x3fb8aa3b, v0
	v_cmp_ngt_f32_e32 vcc_lo, 0xc2ce8ed0, v0
	v_rndne_f32_e32 v2, v1
	v_fma_f32 v3, 0x3fb8aa3b, v0, -v1
	s_delay_alu instid0(VALU_DEP_2) | instskip(NEXT) | instid1(VALU_DEP_2)
	v_sub_f32_e32 v1, v1, v2
	v_fmac_f32_e32 v3, 0x32a5705f, v0
	v_cvt_i32_f32_e32 v2, v2
	s_delay_alu instid0(VALU_DEP_2) | instskip(NEXT) | instid1(VALU_DEP_1)
	v_add_f32_e32 v1, v1, v3
	v_exp_f32_e32 v1, v1
	s_waitcnt_depctr 0xfff
	v_ldexp_f32 v1, v1, v2
	s_delay_alu instid0(VALU_DEP_1) | instskip(SKIP_1) | instid1(VALU_DEP_2)
	v_cndmask_b32_e32 v1, 0, v1, vcc_lo
	v_cmp_nlt_f32_e32 vcc_lo, 0x42b17218, v0
	v_cndmask_b32_e32 v0, 0x7f800000, v1, vcc_lo
	s_delay_alu instid0(VALU_DEP_1) | instskip(NEXT) | instid1(VALU_DEP_1)
	v_add_f32_e32 v0, 1.0, v0
	v_rcp_f32_e32 v0, v0
	s_waitcnt_depctr 0xfff
	v_fma_f32 v131, v0, -2.0, 1.0
.LBB31_54:                              ;   in Loop: Header=BB31_22 Depth=1
	s_and_not1_saveexec_b32 s40, s40
; %bb.55:                               ;   in Loop: Header=BB31_22 Depth=1
	v_mul_f32_e32 v0, v130, v130
	s_delay_alu instid0(VALU_DEP_1) | instskip(NEXT) | instid1(VALU_DEP_1)
	v_fmaak_f32 v1, s38, v0, 0x3ca908c9
	v_fmaak_f32 v1, v0, v1, 0xbd5c1c4e
	s_delay_alu instid0(VALU_DEP_1) | instskip(NEXT) | instid1(VALU_DEP_1)
	v_fmaak_f32 v1, v0, v1, 0x3e088382
	v_fmaak_f32 v1, v0, v1, 0xbeaaaa99
	s_delay_alu instid0(VALU_DEP_1) | instskip(NEXT) | instid1(VALU_DEP_1)
	v_mul_f32_e64 v1, |v130|, v1
	v_fma_f32 v131, v0, v1, |v130|
; %bb.56:                               ;   in Loop: Header=BB31_22 Depth=1
	s_or_b32 exec_lo, exec_lo, s40
	s_delay_alu instid0(VALU_DEP_1) | instskip(SKIP_1) | instid1(VALU_DEP_1)
	v_bfi_b32 v0, 0x7fffffff, v131, v130
	s_and_not1_b32 vcc_lo, exec_lo, s23
	v_mul_f32_e32 v130, s37, v0
	s_cbranch_vccnz .LBB31_58
; %bb.57:                               ;   in Loop: Header=BB31_22 Depth=1
	v_add_co_u32 v0, vcc_lo, s18, v123
	v_add_co_ci_u32_e32 v1, vcc_lo, s19, v124, vcc_lo
	global_load_u16 v0, v[0:1], off offset:4
	s_waitcnt vmcnt(0)
	v_fma_mix_f32 v130, v21, v0, v130 op_sel_hi:[0,1,0]
.LBB31_58:                              ;   in Loop: Header=BB31_22 Depth=1
	v_ashrrev_i32_e32 v1, 31, v20
	v_add_co_u32 v0, vcc_lo, v133, v20
                                        ; implicit-def: $vgpr167
	s_delay_alu instid0(VALU_DEP_2)
	v_add_co_ci_u32_e32 v1, vcc_lo, v134, v1, vcc_lo
	s_clause 0x3
	global_load_b128 v[139:142], v[0:1], off
	global_load_b128 v[147:150], v[0:1], off offset:128
	global_load_b128 v[155:158], v[0:1], off offset:256
	;; [unrolled: 1-line block ×3, first 2 shown]
	s_waitcnt vmcnt(3)
	v_lshlrev_b32_e32 v136, 16, v139
	v_and_b32_e32 v138, 0xffff0000, v140
	s_waitcnt vmcnt(2)
	v_and_b32_e32 v144, 0xffff0000, v147
	v_and_b32_e32 v146, 0xffff0000, v148
	s_waitcnt vmcnt(1)
	v_and_b32_e32 v152, 0xffff0000, v155
	v_fma_f32 v0, v136, v24, 0
	v_lshlrev_b32_e32 v137, 16, v140
	v_and_b32_e32 v135, 0xffff0000, v139
	v_and_b32_e32 v140, 0xffff0000, v141
	;; [unrolled: 1-line block ×3, first 2 shown]
	s_waitcnt vmcnt(0)
	v_and_b32_e32 v160, 0xffff0000, v163
	v_and_b32_e32 v162, 0xffff0000, v164
	v_dual_fmac_f32 v0, v135, v25 :: v_dual_lshlrev_b32 v143, 16, v147
	v_lshlrev_b32_e32 v145, 16, v148
	v_and_b32_e32 v148, 0xffff0000, v149
	s_delay_alu instid0(VALU_DEP_3) | instskip(SKIP_3) | instid1(VALU_DEP_4)
	v_dual_fmac_f32 v0, v137, v26 :: v_dual_lshlrev_b32 v147, 16, v149
	v_lshlrev_b32_e32 v139, 16, v141
	v_lshlrev_b32_e32 v141, 16, v142
	v_and_b32_e32 v142, 0xffff0000, v142
	v_dual_fmac_f32 v0, v138, v27 :: v_dual_lshlrev_b32 v149, 16, v150
	v_and_b32_e32 v150, 0xffff0000, v150
	v_lshlrev_b32_e32 v151, 16, v155
	v_lshlrev_b32_e32 v153, 16, v156
	v_and_b32_e32 v156, 0xffff0000, v157
	v_dual_fmac_f32 v0, v139, v28 :: v_dual_lshlrev_b32 v155, 16, v157
	v_lshlrev_b32_e32 v157, 16, v158
	v_and_b32_e32 v158, 0xffff0000, v158
	s_delay_alu instid0(VALU_DEP_3)
	v_dual_fmac_f32 v0, v140, v29 :: v_dual_lshlrev_b32 v159, 16, v163
	v_lshlrev_b32_e32 v161, 16, v164
	v_and_b32_e32 v164, 0xffff0000, v165
	v_lshlrev_b32_e32 v163, 16, v165
	v_lshlrev_b32_e32 v165, 16, v166
	v_fmac_f32_e32 v0, v141, v30
	v_and_b32_e32 v166, 0xffff0000, v166
	s_delay_alu instid0(VALU_DEP_2) | instskip(NEXT) | instid1(VALU_DEP_1)
	v_fmac_f32_e32 v0, v142, v31
	v_fmac_f32_e32 v0, v143, v32
	s_delay_alu instid0(VALU_DEP_1) | instskip(NEXT) | instid1(VALU_DEP_1)
	v_fmac_f32_e32 v0, v144, v33
	v_fmac_f32_e32 v0, v145, v34
	s_delay_alu instid0(VALU_DEP_1) | instskip(NEXT) | instid1(VALU_DEP_1)
	;; [unrolled: 3-line block ×11, first 2 shown]
	v_fmac_f32_e32 v0, v53, v164
	v_fmac_f32_e32 v0, v54, v165
	s_delay_alu instid0(VALU_DEP_1)
	v_fmac_f32_e32 v0, v55, v166
	ds_bpermute_b32 v1, v7, v0
	s_waitcnt lgkmcnt(0)
	v_add_f32_e32 v0, v0, v1
	ds_bpermute_b32 v1, v8, v0
	s_waitcnt lgkmcnt(0)
	v_add_f32_e32 v0, v0, v1
	;; [unrolled: 3-line block ×3, first 2 shown]
	s_delay_alu instid0(VALU_DEP_1) | instskip(NEXT) | instid1(VALU_DEP_1)
	v_cmp_ngt_f32_e64 s40, 0x3f200000, |v131|
	s_and_saveexec_b32 s41, s40
	s_delay_alu instid0(SALU_CYCLE_1)
	s_xor_b32 s40, exec_lo, s41
	s_cbranch_execz .LBB31_60
; %bb.59:                               ;   in Loop: Header=BB31_22 Depth=1
	v_add_f32_e64 v0, |v131|, |v131|
	s_delay_alu instid0(VALU_DEP_1) | instskip(SKIP_1) | instid1(VALU_DEP_2)
	v_mul_f32_e32 v1, 0x3fb8aa3b, v0
	v_cmp_ngt_f32_e32 vcc_lo, 0xc2ce8ed0, v0
	v_rndne_f32_e32 v2, v1
	v_fma_f32 v3, 0x3fb8aa3b, v0, -v1
	s_delay_alu instid0(VALU_DEP_2) | instskip(NEXT) | instid1(VALU_DEP_2)
	v_sub_f32_e32 v1, v1, v2
	v_fmac_f32_e32 v3, 0x32a5705f, v0
	v_cvt_i32_f32_e32 v2, v2
	s_delay_alu instid0(VALU_DEP_2) | instskip(NEXT) | instid1(VALU_DEP_1)
	v_add_f32_e32 v1, v1, v3
	v_exp_f32_e32 v1, v1
	s_waitcnt_depctr 0xfff
	v_ldexp_f32 v1, v1, v2
	s_delay_alu instid0(VALU_DEP_1) | instskip(SKIP_1) | instid1(VALU_DEP_2)
	v_cndmask_b32_e32 v1, 0, v1, vcc_lo
	v_cmp_nlt_f32_e32 vcc_lo, 0x42b17218, v0
	v_cndmask_b32_e32 v0, 0x7f800000, v1, vcc_lo
	s_delay_alu instid0(VALU_DEP_1) | instskip(NEXT) | instid1(VALU_DEP_1)
	v_add_f32_e32 v0, 1.0, v0
	v_rcp_f32_e32 v0, v0
	s_waitcnt_depctr 0xfff
	v_fma_f32 v167, v0, -2.0, 1.0
.LBB31_60:                              ;   in Loop: Header=BB31_22 Depth=1
	s_and_not1_saveexec_b32 s40, s40
; %bb.61:                               ;   in Loop: Header=BB31_22 Depth=1
	v_mul_f32_e32 v0, v131, v131
	s_delay_alu instid0(VALU_DEP_1) | instskip(NEXT) | instid1(VALU_DEP_1)
	v_fmaak_f32 v1, s38, v0, 0x3ca908c9
	v_fmaak_f32 v1, v0, v1, 0xbd5c1c4e
	s_delay_alu instid0(VALU_DEP_1) | instskip(NEXT) | instid1(VALU_DEP_1)
	v_fmaak_f32 v1, v0, v1, 0x3e088382
	v_fmaak_f32 v1, v0, v1, 0xbeaaaa99
	s_delay_alu instid0(VALU_DEP_1) | instskip(NEXT) | instid1(VALU_DEP_1)
	v_mul_f32_e64 v1, |v131|, v1
	v_fma_f32 v167, v0, v1, |v131|
; %bb.62:                               ;   in Loop: Header=BB31_22 Depth=1
	s_or_b32 exec_lo, exec_lo, s40
	s_delay_alu instid0(VALU_DEP_1) | instskip(SKIP_1) | instid1(VALU_DEP_1)
	v_bfi_b32 v0, 0x7fffffff, v167, v131
	s_and_not1_b32 vcc_lo, exec_lo, s10
	v_mul_f32_e32 v131, s37, v0
	s_cbranch_vccnz .LBB31_64
; %bb.63:                               ;   in Loop: Header=BB31_22 Depth=1
	global_load_u16 v0, v132, s[18:19] offset:6
	s_waitcnt vmcnt(0)
	v_fma_mix_f32 v131, v21, v0, v131 op_sel_hi:[0,1,0]
.LBB31_64:                              ;   in Loop: Header=BB31_22 Depth=1
	v_fma_f32 v0, v136, v56, 0
                                        ; implicit-def: $vgpr136
	s_delay_alu instid0(VALU_DEP_1) | instskip(NEXT) | instid1(VALU_DEP_1)
	v_fmac_f32_e32 v0, v135, v57
	v_fmac_f32_e32 v0, v137, v58
	s_delay_alu instid0(VALU_DEP_1) | instskip(NEXT) | instid1(VALU_DEP_1)
	v_fmac_f32_e32 v0, v138, v59
	v_fmac_f32_e32 v0, v139, v60
	;; [unrolled: 3-line block ×15, first 2 shown]
	s_delay_alu instid0(VALU_DEP_1)
	v_fmac_f32_e32 v0, v166, v87
	ds_bpermute_b32 v1, v7, v0
	s_waitcnt lgkmcnt(0)
	v_add_f32_e32 v0, v0, v1
	ds_bpermute_b32 v1, v8, v0
	s_waitcnt lgkmcnt(0)
	v_add_f32_e32 v0, v0, v1
	;; [unrolled: 3-line block ×3, first 2 shown]
	s_delay_alu instid0(VALU_DEP_1) | instskip(NEXT) | instid1(VALU_DEP_1)
	v_cmp_ngt_f32_e64 s40, 0x3f200000, |v135|
	s_and_saveexec_b32 s41, s40
	s_delay_alu instid0(SALU_CYCLE_1)
	s_xor_b32 s40, exec_lo, s41
	s_cbranch_execz .LBB31_66
; %bb.65:                               ;   in Loop: Header=BB31_22 Depth=1
	v_add_f32_e64 v0, |v135|, |v135|
	s_delay_alu instid0(VALU_DEP_1) | instskip(SKIP_1) | instid1(VALU_DEP_2)
	v_mul_f32_e32 v1, 0x3fb8aa3b, v0
	v_cmp_ngt_f32_e32 vcc_lo, 0xc2ce8ed0, v0
	v_rndne_f32_e32 v2, v1
	v_fma_f32 v3, 0x3fb8aa3b, v0, -v1
	s_delay_alu instid0(VALU_DEP_2) | instskip(NEXT) | instid1(VALU_DEP_2)
	v_sub_f32_e32 v1, v1, v2
	v_fmac_f32_e32 v3, 0x32a5705f, v0
	v_cvt_i32_f32_e32 v2, v2
	s_delay_alu instid0(VALU_DEP_2) | instskip(NEXT) | instid1(VALU_DEP_1)
	v_add_f32_e32 v1, v1, v3
	v_exp_f32_e32 v1, v1
	s_waitcnt_depctr 0xfff
	v_ldexp_f32 v1, v1, v2
	s_delay_alu instid0(VALU_DEP_1) | instskip(SKIP_1) | instid1(VALU_DEP_2)
	v_cndmask_b32_e32 v1, 0, v1, vcc_lo
	v_cmp_nlt_f32_e32 vcc_lo, 0x42b17218, v0
	v_cndmask_b32_e32 v0, 0x7f800000, v1, vcc_lo
	s_delay_alu instid0(VALU_DEP_1) | instskip(NEXT) | instid1(VALU_DEP_1)
	v_add_f32_e32 v0, 1.0, v0
	v_rcp_f32_e32 v0, v0
	s_waitcnt_depctr 0xfff
	v_fma_f32 v136, v0, -2.0, 1.0
.LBB31_66:                              ;   in Loop: Header=BB31_22 Depth=1
	s_and_not1_saveexec_b32 s40, s40
; %bb.67:                               ;   in Loop: Header=BB31_22 Depth=1
	v_mul_f32_e32 v0, v135, v135
	s_delay_alu instid0(VALU_DEP_1) | instskip(NEXT) | instid1(VALU_DEP_1)
	v_fmaak_f32 v1, s38, v0, 0x3ca908c9
	v_fmaak_f32 v1, v0, v1, 0xbd5c1c4e
	s_delay_alu instid0(VALU_DEP_1) | instskip(NEXT) | instid1(VALU_DEP_1)
	v_fmaak_f32 v1, v0, v1, 0x3e088382
	v_fmaak_f32 v1, v0, v1, 0xbeaaaa99
	s_delay_alu instid0(VALU_DEP_1) | instskip(NEXT) | instid1(VALU_DEP_1)
	v_mul_f32_e64 v1, |v135|, v1
	v_fma_f32 v136, v0, v1, |v135|
; %bb.68:                               ;   in Loop: Header=BB31_22 Depth=1
	s_or_b32 exec_lo, exec_lo, s40
	s_delay_alu instid0(VALU_DEP_1) | instskip(SKIP_1) | instid1(VALU_DEP_1)
	v_bfi_b32 v0, 0x7fffffff, v136, v135
	s_and_not1_b32 vcc_lo, exec_lo, s23
	v_mul_f32_e32 v135, s37, v0
	s_cbranch_vccnz .LBB31_70
; %bb.69:                               ;   in Loop: Header=BB31_22 Depth=1
	v_add_co_u32 v0, vcc_lo, s18, v123
	v_add_co_ci_u32_e32 v1, vcc_lo, s19, v124, vcc_lo
	global_load_u16 v0, v[0:1], off offset:6
	s_waitcnt vmcnt(0)
	v_fma_mix_f32 v135, v21, v0, v135 op_sel_hi:[0,1,0]
.LBB31_70:                              ;   in Loop: Header=BB31_22 Depth=1
	v_ashrrev_i32_e32 v1, 31, v102
	v_add_co_u32 v0, vcc_lo, v133, v102
                                        ; implicit-def: $vgpr169
	s_delay_alu instid0(VALU_DEP_2)
	v_add_co_ci_u32_e32 v1, vcc_lo, v134, v1, vcc_lo
	s_clause 0x3
	global_load_b128 v[141:144], v[0:1], off
	global_load_b128 v[149:152], v[0:1], off offset:128
	global_load_b128 v[157:160], v[0:1], off offset:256
	;; [unrolled: 1-line block ×3, first 2 shown]
	s_waitcnt vmcnt(3)
	v_lshlrev_b32_e32 v138, 16, v141
	v_and_b32_e32 v140, 0xffff0000, v142
	s_waitcnt vmcnt(2)
	v_and_b32_e32 v146, 0xffff0000, v149
	v_and_b32_e32 v148, 0xffff0000, v150
	s_waitcnt vmcnt(1)
	v_and_b32_e32 v154, 0xffff0000, v157
	v_fma_f32 v0, v138, v24, 0
	v_lshlrev_b32_e32 v139, 16, v142
	v_and_b32_e32 v137, 0xffff0000, v141
	v_and_b32_e32 v142, 0xffff0000, v143
	v_lshlrev_b32_e32 v141, 16, v143
	v_and_b32_e32 v156, 0xffff0000, v158
	s_waitcnt vmcnt(0)
	v_and_b32_e32 v162, 0xffff0000, v165
	v_fmac_f32_e32 v0, v137, v25
	v_and_b32_e32 v164, 0xffff0000, v166
	v_lshlrev_b32_e32 v143, 16, v144
	v_and_b32_e32 v144, 0xffff0000, v144
	s_delay_alu instid0(VALU_DEP_4) | instskip(SKIP_3) | instid1(VALU_DEP_4)
	v_dual_fmac_f32 v0, v139, v26 :: v_dual_lshlrev_b32 v145, 16, v149
	v_lshlrev_b32_e32 v149, 16, v151
	v_lshlrev_b32_e32 v147, 16, v150
	v_and_b32_e32 v150, 0xffff0000, v151
	v_dual_fmac_f32 v0, v140, v27 :: v_dual_lshlrev_b32 v153, 16, v157
	v_lshlrev_b32_e32 v151, 16, v152
	v_and_b32_e32 v152, 0xffff0000, v152
	v_lshlrev_b32_e32 v157, 16, v159
	s_delay_alu instid0(VALU_DEP_4)
	v_dual_fmac_f32 v0, v141, v28 :: v_dual_lshlrev_b32 v155, 16, v158
	v_and_b32_e32 v158, 0xffff0000, v159
	v_lshlrev_b32_e32 v161, 16, v165
	v_lshlrev_b32_e32 v159, 16, v160
	v_and_b32_e32 v160, 0xffff0000, v160
	v_dual_fmac_f32 v0, v142, v29 :: v_dual_lshlrev_b32 v165, 16, v167
	v_lshlrev_b32_e32 v163, 16, v166
	v_and_b32_e32 v166, 0xffff0000, v167
	s_delay_alu instid0(VALU_DEP_3) | instskip(SKIP_1) | instid1(VALU_DEP_2)
	v_dual_fmac_f32 v0, v143, v30 :: v_dual_lshlrev_b32 v167, 16, v168
	v_and_b32_e32 v168, 0xffff0000, v168
	v_fmac_f32_e32 v0, v144, v31
	s_delay_alu instid0(VALU_DEP_1) | instskip(NEXT) | instid1(VALU_DEP_1)
	v_fmac_f32_e32 v0, v145, v32
	v_fmac_f32_e32 v0, v146, v33
	s_delay_alu instid0(VALU_DEP_1) | instskip(NEXT) | instid1(VALU_DEP_1)
	v_fmac_f32_e32 v0, v147, v34
	;; [unrolled: 3-line block ×12, first 2 shown]
	v_fmac_f32_e32 v0, v55, v168
	ds_bpermute_b32 v1, v7, v0
	s_waitcnt lgkmcnt(0)
	v_add_f32_e32 v0, v0, v1
	ds_bpermute_b32 v1, v8, v0
	s_waitcnt lgkmcnt(0)
	v_add_f32_e32 v0, v0, v1
	;; [unrolled: 3-line block ×3, first 2 shown]
	s_delay_alu instid0(VALU_DEP_1) | instskip(NEXT) | instid1(VALU_DEP_1)
	v_cmp_ngt_f32_e64 s40, 0x3f200000, |v136|
	s_and_saveexec_b32 s41, s40
	s_delay_alu instid0(SALU_CYCLE_1)
	s_xor_b32 s40, exec_lo, s41
	s_cbranch_execz .LBB31_72
; %bb.71:                               ;   in Loop: Header=BB31_22 Depth=1
	v_add_f32_e64 v0, |v136|, |v136|
	s_delay_alu instid0(VALU_DEP_1) | instskip(SKIP_1) | instid1(VALU_DEP_2)
	v_mul_f32_e32 v1, 0x3fb8aa3b, v0
	v_cmp_ngt_f32_e32 vcc_lo, 0xc2ce8ed0, v0
	v_rndne_f32_e32 v2, v1
	v_fma_f32 v3, 0x3fb8aa3b, v0, -v1
	s_delay_alu instid0(VALU_DEP_2) | instskip(NEXT) | instid1(VALU_DEP_2)
	v_sub_f32_e32 v1, v1, v2
	v_fmac_f32_e32 v3, 0x32a5705f, v0
	v_cvt_i32_f32_e32 v2, v2
	s_delay_alu instid0(VALU_DEP_2) | instskip(NEXT) | instid1(VALU_DEP_1)
	v_add_f32_e32 v1, v1, v3
	v_exp_f32_e32 v1, v1
	s_waitcnt_depctr 0xfff
	v_ldexp_f32 v1, v1, v2
	s_delay_alu instid0(VALU_DEP_1) | instskip(SKIP_1) | instid1(VALU_DEP_2)
	v_cndmask_b32_e32 v1, 0, v1, vcc_lo
	v_cmp_nlt_f32_e32 vcc_lo, 0x42b17218, v0
	v_cndmask_b32_e32 v0, 0x7f800000, v1, vcc_lo
	s_delay_alu instid0(VALU_DEP_1) | instskip(NEXT) | instid1(VALU_DEP_1)
	v_add_f32_e32 v0, 1.0, v0
	v_rcp_f32_e32 v0, v0
	s_waitcnt_depctr 0xfff
	v_fma_f32 v169, v0, -2.0, 1.0
.LBB31_72:                              ;   in Loop: Header=BB31_22 Depth=1
	s_and_not1_saveexec_b32 s40, s40
; %bb.73:                               ;   in Loop: Header=BB31_22 Depth=1
	v_mul_f32_e32 v0, v136, v136
	s_delay_alu instid0(VALU_DEP_1) | instskip(NEXT) | instid1(VALU_DEP_1)
	v_fmaak_f32 v1, s38, v0, 0x3ca908c9
	v_fmaak_f32 v1, v0, v1, 0xbd5c1c4e
	s_delay_alu instid0(VALU_DEP_1) | instskip(NEXT) | instid1(VALU_DEP_1)
	v_fmaak_f32 v1, v0, v1, 0x3e088382
	v_fmaak_f32 v1, v0, v1, 0xbeaaaa99
	s_delay_alu instid0(VALU_DEP_1) | instskip(NEXT) | instid1(VALU_DEP_1)
	v_mul_f32_e64 v1, |v136|, v1
	v_fma_f32 v169, v0, v1, |v136|
; %bb.74:                               ;   in Loop: Header=BB31_22 Depth=1
	s_or_b32 exec_lo, exec_lo, s40
	s_delay_alu instid0(VALU_DEP_1) | instskip(SKIP_1) | instid1(VALU_DEP_1)
	v_bfi_b32 v0, 0x7fffffff, v169, v136
	s_and_not1_b32 vcc_lo, exec_lo, s10
	v_mul_f32_e32 v136, s37, v0
	s_cbranch_vccnz .LBB31_76
; %bb.75:                               ;   in Loop: Header=BB31_22 Depth=1
	global_load_u16 v0, v132, s[18:19] offset:8
	s_waitcnt vmcnt(0)
	v_fma_mix_f32 v136, v21, v0, v136 op_sel_hi:[0,1,0]
.LBB31_76:                              ;   in Loop: Header=BB31_22 Depth=1
	v_fma_f32 v0, v138, v56, 0
                                        ; implicit-def: $vgpr138
	s_delay_alu instid0(VALU_DEP_1) | instskip(NEXT) | instid1(VALU_DEP_1)
	v_fmac_f32_e32 v0, v137, v57
	v_fmac_f32_e32 v0, v139, v58
	s_delay_alu instid0(VALU_DEP_1) | instskip(NEXT) | instid1(VALU_DEP_1)
	v_fmac_f32_e32 v0, v140, v59
	v_fmac_f32_e32 v0, v141, v60
	;; [unrolled: 3-line block ×15, first 2 shown]
	s_delay_alu instid0(VALU_DEP_1)
	v_fmac_f32_e32 v0, v168, v87
	ds_bpermute_b32 v1, v7, v0
	s_waitcnt lgkmcnt(0)
	v_add_f32_e32 v0, v0, v1
	ds_bpermute_b32 v1, v8, v0
	s_waitcnt lgkmcnt(0)
	v_add_f32_e32 v0, v0, v1
	;; [unrolled: 3-line block ×3, first 2 shown]
	s_delay_alu instid0(VALU_DEP_1) | instskip(NEXT) | instid1(VALU_DEP_1)
	v_cmp_ngt_f32_e64 s40, 0x3f200000, |v137|
	s_and_saveexec_b32 s41, s40
	s_delay_alu instid0(SALU_CYCLE_1)
	s_xor_b32 s40, exec_lo, s41
	s_cbranch_execz .LBB31_78
; %bb.77:                               ;   in Loop: Header=BB31_22 Depth=1
	v_add_f32_e64 v0, |v137|, |v137|
	s_delay_alu instid0(VALU_DEP_1) | instskip(SKIP_1) | instid1(VALU_DEP_2)
	v_mul_f32_e32 v1, 0x3fb8aa3b, v0
	v_cmp_ngt_f32_e32 vcc_lo, 0xc2ce8ed0, v0
	v_rndne_f32_e32 v2, v1
	v_fma_f32 v3, 0x3fb8aa3b, v0, -v1
	s_delay_alu instid0(VALU_DEP_2) | instskip(NEXT) | instid1(VALU_DEP_2)
	v_sub_f32_e32 v1, v1, v2
	v_fmac_f32_e32 v3, 0x32a5705f, v0
	v_cvt_i32_f32_e32 v2, v2
	s_delay_alu instid0(VALU_DEP_2) | instskip(NEXT) | instid1(VALU_DEP_1)
	v_add_f32_e32 v1, v1, v3
	v_exp_f32_e32 v1, v1
	s_waitcnt_depctr 0xfff
	v_ldexp_f32 v1, v1, v2
	s_delay_alu instid0(VALU_DEP_1) | instskip(SKIP_1) | instid1(VALU_DEP_2)
	v_cndmask_b32_e32 v1, 0, v1, vcc_lo
	v_cmp_nlt_f32_e32 vcc_lo, 0x42b17218, v0
	v_cndmask_b32_e32 v0, 0x7f800000, v1, vcc_lo
	s_delay_alu instid0(VALU_DEP_1) | instskip(NEXT) | instid1(VALU_DEP_1)
	v_add_f32_e32 v0, 1.0, v0
	v_rcp_f32_e32 v0, v0
	s_waitcnt_depctr 0xfff
	v_fma_f32 v138, v0, -2.0, 1.0
.LBB31_78:                              ;   in Loop: Header=BB31_22 Depth=1
	s_and_not1_saveexec_b32 s40, s40
; %bb.79:                               ;   in Loop: Header=BB31_22 Depth=1
	v_mul_f32_e32 v0, v137, v137
	s_delay_alu instid0(VALU_DEP_1) | instskip(NEXT) | instid1(VALU_DEP_1)
	v_fmaak_f32 v1, s38, v0, 0x3ca908c9
	v_fmaak_f32 v1, v0, v1, 0xbd5c1c4e
	s_delay_alu instid0(VALU_DEP_1) | instskip(NEXT) | instid1(VALU_DEP_1)
	v_fmaak_f32 v1, v0, v1, 0x3e088382
	v_fmaak_f32 v1, v0, v1, 0xbeaaaa99
	s_delay_alu instid0(VALU_DEP_1) | instskip(NEXT) | instid1(VALU_DEP_1)
	v_mul_f32_e64 v1, |v137|, v1
	v_fma_f32 v138, v0, v1, |v137|
; %bb.80:                               ;   in Loop: Header=BB31_22 Depth=1
	s_or_b32 exec_lo, exec_lo, s40
	s_delay_alu instid0(VALU_DEP_1) | instskip(SKIP_1) | instid1(VALU_DEP_1)
	v_bfi_b32 v0, 0x7fffffff, v138, v137
	s_and_not1_b32 vcc_lo, exec_lo, s23
	v_mul_f32_e32 v137, s37, v0
	s_cbranch_vccnz .LBB31_82
; %bb.81:                               ;   in Loop: Header=BB31_22 Depth=1
	v_add_co_u32 v0, vcc_lo, s18, v123
	v_add_co_ci_u32_e32 v1, vcc_lo, s19, v124, vcc_lo
	global_load_u16 v0, v[0:1], off offset:8
	s_waitcnt vmcnt(0)
	v_fma_mix_f32 v137, v21, v0, v137 op_sel_hi:[0,1,0]
.LBB31_82:                              ;   in Loop: Header=BB31_22 Depth=1
	v_ashrrev_i32_e32 v1, 31, v103
	v_add_co_u32 v0, vcc_lo, v133, v103
                                        ; implicit-def: $vgpr171
	s_delay_alu instid0(VALU_DEP_2)
	v_add_co_ci_u32_e32 v1, vcc_lo, v134, v1, vcc_lo
	s_clause 0x3
	global_load_b128 v[143:146], v[0:1], off
	global_load_b128 v[151:154], v[0:1], off offset:128
	global_load_b128 v[159:162], v[0:1], off offset:256
	global_load_b128 v[167:170], v[0:1], off offset:384
	s_waitcnt vmcnt(3)
	v_lshlrev_b32_e32 v140, 16, v143
	v_and_b32_e32 v142, 0xffff0000, v144
	s_waitcnt vmcnt(2)
	v_and_b32_e32 v148, 0xffff0000, v151
	v_and_b32_e32 v150, 0xffff0000, v152
	s_waitcnt vmcnt(1)
	v_and_b32_e32 v156, 0xffff0000, v159
	v_fma_f32 v0, v140, v24, 0
	v_lshlrev_b32_e32 v141, 16, v144
	v_and_b32_e32 v139, 0xffff0000, v143
	v_and_b32_e32 v144, 0xffff0000, v145
	;; [unrolled: 1-line block ×3, first 2 shown]
	s_waitcnt vmcnt(0)
	v_and_b32_e32 v164, 0xffff0000, v167
	v_and_b32_e32 v166, 0xffff0000, v168
	v_dual_fmac_f32 v0, v139, v25 :: v_dual_lshlrev_b32 v147, 16, v151
	v_lshlrev_b32_e32 v149, 16, v152
	v_and_b32_e32 v152, 0xffff0000, v153
	s_delay_alu instid0(VALU_DEP_3) | instskip(SKIP_3) | instid1(VALU_DEP_4)
	v_dual_fmac_f32 v0, v141, v26 :: v_dual_lshlrev_b32 v151, 16, v153
	v_lshlrev_b32_e32 v143, 16, v145
	v_lshlrev_b32_e32 v145, 16, v146
	v_and_b32_e32 v146, 0xffff0000, v146
	v_dual_fmac_f32 v0, v142, v27 :: v_dual_lshlrev_b32 v153, 16, v154
	v_and_b32_e32 v154, 0xffff0000, v154
	v_lshlrev_b32_e32 v155, 16, v159
	v_lshlrev_b32_e32 v157, 16, v160
	v_and_b32_e32 v160, 0xffff0000, v161
	v_dual_fmac_f32 v0, v143, v28 :: v_dual_lshlrev_b32 v159, 16, v161
	v_lshlrev_b32_e32 v161, 16, v162
	v_and_b32_e32 v162, 0xffff0000, v162
	s_delay_alu instid0(VALU_DEP_3)
	v_dual_fmac_f32 v0, v144, v29 :: v_dual_lshlrev_b32 v163, 16, v167
	v_lshlrev_b32_e32 v165, 16, v168
	v_and_b32_e32 v168, 0xffff0000, v169
	v_lshlrev_b32_e32 v167, 16, v169
	v_lshlrev_b32_e32 v169, 16, v170
	v_fmac_f32_e32 v0, v145, v30
	v_and_b32_e32 v170, 0xffff0000, v170
	s_delay_alu instid0(VALU_DEP_2) | instskip(NEXT) | instid1(VALU_DEP_1)
	v_fmac_f32_e32 v0, v146, v31
	v_fmac_f32_e32 v0, v147, v32
	s_delay_alu instid0(VALU_DEP_1) | instskip(NEXT) | instid1(VALU_DEP_1)
	v_fmac_f32_e32 v0, v148, v33
	v_fmac_f32_e32 v0, v149, v34
	s_delay_alu instid0(VALU_DEP_1) | instskip(NEXT) | instid1(VALU_DEP_1)
	;; [unrolled: 3-line block ×11, first 2 shown]
	v_fmac_f32_e32 v0, v53, v168
	v_fmac_f32_e32 v0, v54, v169
	s_delay_alu instid0(VALU_DEP_1)
	v_fmac_f32_e32 v0, v55, v170
	ds_bpermute_b32 v1, v7, v0
	s_waitcnt lgkmcnt(0)
	v_add_f32_e32 v0, v0, v1
	ds_bpermute_b32 v1, v8, v0
	s_waitcnt lgkmcnt(0)
	v_add_f32_e32 v0, v0, v1
	;; [unrolled: 3-line block ×3, first 2 shown]
	s_delay_alu instid0(VALU_DEP_1) | instskip(NEXT) | instid1(VALU_DEP_1)
	v_cmp_ngt_f32_e64 s40, 0x3f200000, |v138|
	s_and_saveexec_b32 s41, s40
	s_delay_alu instid0(SALU_CYCLE_1)
	s_xor_b32 s40, exec_lo, s41
	s_cbranch_execz .LBB31_84
; %bb.83:                               ;   in Loop: Header=BB31_22 Depth=1
	v_add_f32_e64 v0, |v138|, |v138|
	s_delay_alu instid0(VALU_DEP_1) | instskip(SKIP_1) | instid1(VALU_DEP_2)
	v_mul_f32_e32 v1, 0x3fb8aa3b, v0
	v_cmp_ngt_f32_e32 vcc_lo, 0xc2ce8ed0, v0
	v_rndne_f32_e32 v2, v1
	v_fma_f32 v3, 0x3fb8aa3b, v0, -v1
	s_delay_alu instid0(VALU_DEP_2) | instskip(NEXT) | instid1(VALU_DEP_2)
	v_sub_f32_e32 v1, v1, v2
	v_fmac_f32_e32 v3, 0x32a5705f, v0
	v_cvt_i32_f32_e32 v2, v2
	s_delay_alu instid0(VALU_DEP_2) | instskip(NEXT) | instid1(VALU_DEP_1)
	v_add_f32_e32 v1, v1, v3
	v_exp_f32_e32 v1, v1
	s_waitcnt_depctr 0xfff
	v_ldexp_f32 v1, v1, v2
	s_delay_alu instid0(VALU_DEP_1) | instskip(SKIP_1) | instid1(VALU_DEP_2)
	v_cndmask_b32_e32 v1, 0, v1, vcc_lo
	v_cmp_nlt_f32_e32 vcc_lo, 0x42b17218, v0
	v_cndmask_b32_e32 v0, 0x7f800000, v1, vcc_lo
	s_delay_alu instid0(VALU_DEP_1) | instskip(NEXT) | instid1(VALU_DEP_1)
	v_add_f32_e32 v0, 1.0, v0
	v_rcp_f32_e32 v0, v0
	s_waitcnt_depctr 0xfff
	v_fma_f32 v171, v0, -2.0, 1.0
.LBB31_84:                              ;   in Loop: Header=BB31_22 Depth=1
	s_and_not1_saveexec_b32 s40, s40
; %bb.85:                               ;   in Loop: Header=BB31_22 Depth=1
	v_mul_f32_e32 v0, v138, v138
	s_delay_alu instid0(VALU_DEP_1) | instskip(NEXT) | instid1(VALU_DEP_1)
	v_fmaak_f32 v1, s38, v0, 0x3ca908c9
	v_fmaak_f32 v1, v0, v1, 0xbd5c1c4e
	s_delay_alu instid0(VALU_DEP_1) | instskip(NEXT) | instid1(VALU_DEP_1)
	v_fmaak_f32 v1, v0, v1, 0x3e088382
	v_fmaak_f32 v1, v0, v1, 0xbeaaaa99
	s_delay_alu instid0(VALU_DEP_1) | instskip(NEXT) | instid1(VALU_DEP_1)
	v_mul_f32_e64 v1, |v138|, v1
	v_fma_f32 v171, v0, v1, |v138|
; %bb.86:                               ;   in Loop: Header=BB31_22 Depth=1
	s_or_b32 exec_lo, exec_lo, s40
	s_delay_alu instid0(VALU_DEP_1) | instskip(SKIP_1) | instid1(VALU_DEP_1)
	v_bfi_b32 v0, 0x7fffffff, v171, v138
	s_and_not1_b32 vcc_lo, exec_lo, s10
	v_mul_f32_e32 v138, s37, v0
	s_cbranch_vccnz .LBB31_88
; %bb.87:                               ;   in Loop: Header=BB31_22 Depth=1
	global_load_u16 v0, v132, s[18:19] offset:10
	s_waitcnt vmcnt(0)
	v_fma_mix_f32 v138, v21, v0, v138 op_sel_hi:[0,1,0]
.LBB31_88:                              ;   in Loop: Header=BB31_22 Depth=1
	v_fma_f32 v0, v140, v56, 0
                                        ; implicit-def: $vgpr140
	s_delay_alu instid0(VALU_DEP_1) | instskip(NEXT) | instid1(VALU_DEP_1)
	v_fmac_f32_e32 v0, v139, v57
	v_fmac_f32_e32 v0, v141, v58
	s_delay_alu instid0(VALU_DEP_1) | instskip(NEXT) | instid1(VALU_DEP_1)
	v_fmac_f32_e32 v0, v142, v59
	v_fmac_f32_e32 v0, v143, v60
	;; [unrolled: 3-line block ×15, first 2 shown]
	s_delay_alu instid0(VALU_DEP_1)
	v_fmac_f32_e32 v0, v170, v87
	ds_bpermute_b32 v1, v7, v0
	s_waitcnt lgkmcnt(0)
	v_add_f32_e32 v0, v0, v1
	ds_bpermute_b32 v1, v8, v0
	s_waitcnt lgkmcnt(0)
	v_add_f32_e32 v0, v0, v1
	;; [unrolled: 3-line block ×3, first 2 shown]
	s_delay_alu instid0(VALU_DEP_1) | instskip(NEXT) | instid1(VALU_DEP_1)
	v_cmp_ngt_f32_e64 s40, 0x3f200000, |v139|
	s_and_saveexec_b32 s41, s40
	s_delay_alu instid0(SALU_CYCLE_1)
	s_xor_b32 s40, exec_lo, s41
	s_cbranch_execz .LBB31_90
; %bb.89:                               ;   in Loop: Header=BB31_22 Depth=1
	v_add_f32_e64 v0, |v139|, |v139|
	s_delay_alu instid0(VALU_DEP_1) | instskip(SKIP_1) | instid1(VALU_DEP_2)
	v_mul_f32_e32 v1, 0x3fb8aa3b, v0
	v_cmp_ngt_f32_e32 vcc_lo, 0xc2ce8ed0, v0
	v_rndne_f32_e32 v2, v1
	v_fma_f32 v3, 0x3fb8aa3b, v0, -v1
	s_delay_alu instid0(VALU_DEP_2) | instskip(NEXT) | instid1(VALU_DEP_2)
	v_sub_f32_e32 v1, v1, v2
	v_fmac_f32_e32 v3, 0x32a5705f, v0
	v_cvt_i32_f32_e32 v2, v2
	s_delay_alu instid0(VALU_DEP_2) | instskip(NEXT) | instid1(VALU_DEP_1)
	v_add_f32_e32 v1, v1, v3
	v_exp_f32_e32 v1, v1
	s_waitcnt_depctr 0xfff
	v_ldexp_f32 v1, v1, v2
	s_delay_alu instid0(VALU_DEP_1) | instskip(SKIP_1) | instid1(VALU_DEP_2)
	v_cndmask_b32_e32 v1, 0, v1, vcc_lo
	v_cmp_nlt_f32_e32 vcc_lo, 0x42b17218, v0
	v_cndmask_b32_e32 v0, 0x7f800000, v1, vcc_lo
	s_delay_alu instid0(VALU_DEP_1) | instskip(NEXT) | instid1(VALU_DEP_1)
	v_add_f32_e32 v0, 1.0, v0
	v_rcp_f32_e32 v0, v0
	s_waitcnt_depctr 0xfff
	v_fma_f32 v140, v0, -2.0, 1.0
.LBB31_90:                              ;   in Loop: Header=BB31_22 Depth=1
	s_and_not1_saveexec_b32 s40, s40
; %bb.91:                               ;   in Loop: Header=BB31_22 Depth=1
	v_mul_f32_e32 v0, v139, v139
	s_delay_alu instid0(VALU_DEP_1) | instskip(NEXT) | instid1(VALU_DEP_1)
	v_fmaak_f32 v1, s38, v0, 0x3ca908c9
	v_fmaak_f32 v1, v0, v1, 0xbd5c1c4e
	s_delay_alu instid0(VALU_DEP_1) | instskip(NEXT) | instid1(VALU_DEP_1)
	v_fmaak_f32 v1, v0, v1, 0x3e088382
	v_fmaak_f32 v1, v0, v1, 0xbeaaaa99
	s_delay_alu instid0(VALU_DEP_1) | instskip(NEXT) | instid1(VALU_DEP_1)
	v_mul_f32_e64 v1, |v139|, v1
	v_fma_f32 v140, v0, v1, |v139|
; %bb.92:                               ;   in Loop: Header=BB31_22 Depth=1
	s_or_b32 exec_lo, exec_lo, s40
	s_delay_alu instid0(VALU_DEP_1) | instskip(SKIP_1) | instid1(VALU_DEP_1)
	v_bfi_b32 v0, 0x7fffffff, v140, v139
	s_and_not1_b32 vcc_lo, exec_lo, s23
	v_mul_f32_e32 v139, s37, v0
	s_cbranch_vccnz .LBB31_94
; %bb.93:                               ;   in Loop: Header=BB31_22 Depth=1
	v_add_co_u32 v0, vcc_lo, s18, v123
	v_add_co_ci_u32_e32 v1, vcc_lo, s19, v124, vcc_lo
	global_load_u16 v0, v[0:1], off offset:10
	s_waitcnt vmcnt(0)
	v_fma_mix_f32 v139, v21, v0, v139 op_sel_hi:[0,1,0]
.LBB31_94:                              ;   in Loop: Header=BB31_22 Depth=1
	v_ashrrev_i32_e32 v1, 31, v106
	v_add_co_u32 v0, vcc_lo, v133, v106
                                        ; implicit-def: $vgpr173
	s_delay_alu instid0(VALU_DEP_2)
	v_add_co_ci_u32_e32 v1, vcc_lo, v134, v1, vcc_lo
	s_clause 0x3
	global_load_b128 v[145:148], v[0:1], off
	global_load_b128 v[153:156], v[0:1], off offset:128
	global_load_b128 v[161:164], v[0:1], off offset:256
	;; [unrolled: 1-line block ×3, first 2 shown]
	s_waitcnt vmcnt(3)
	v_lshlrev_b32_e32 v142, 16, v145
	v_and_b32_e32 v144, 0xffff0000, v146
	s_waitcnt vmcnt(2)
	v_and_b32_e32 v150, 0xffff0000, v153
	v_and_b32_e32 v152, 0xffff0000, v154
	s_waitcnt vmcnt(1)
	v_and_b32_e32 v158, 0xffff0000, v161
	v_fma_f32 v0, v142, v24, 0
	v_lshlrev_b32_e32 v143, 16, v146
	v_and_b32_e32 v141, 0xffff0000, v145
	v_and_b32_e32 v146, 0xffff0000, v147
	v_lshlrev_b32_e32 v145, 16, v147
	v_and_b32_e32 v160, 0xffff0000, v162
	s_waitcnt vmcnt(0)
	v_and_b32_e32 v166, 0xffff0000, v169
	v_fmac_f32_e32 v0, v141, v25
	v_and_b32_e32 v168, 0xffff0000, v170
	v_lshlrev_b32_e32 v147, 16, v148
	v_and_b32_e32 v148, 0xffff0000, v148
	s_delay_alu instid0(VALU_DEP_4) | instskip(SKIP_3) | instid1(VALU_DEP_4)
	v_dual_fmac_f32 v0, v143, v26 :: v_dual_lshlrev_b32 v149, 16, v153
	v_lshlrev_b32_e32 v153, 16, v155
	v_lshlrev_b32_e32 v151, 16, v154
	v_and_b32_e32 v154, 0xffff0000, v155
	v_dual_fmac_f32 v0, v144, v27 :: v_dual_lshlrev_b32 v157, 16, v161
	v_lshlrev_b32_e32 v155, 16, v156
	v_and_b32_e32 v156, 0xffff0000, v156
	v_lshlrev_b32_e32 v161, 16, v163
	s_delay_alu instid0(VALU_DEP_4)
	v_dual_fmac_f32 v0, v145, v28 :: v_dual_lshlrev_b32 v159, 16, v162
	v_and_b32_e32 v162, 0xffff0000, v163
	v_lshlrev_b32_e32 v165, 16, v169
	v_lshlrev_b32_e32 v163, 16, v164
	v_and_b32_e32 v164, 0xffff0000, v164
	v_dual_fmac_f32 v0, v146, v29 :: v_dual_lshlrev_b32 v169, 16, v171
	v_lshlrev_b32_e32 v167, 16, v170
	v_and_b32_e32 v170, 0xffff0000, v171
	s_delay_alu instid0(VALU_DEP_3) | instskip(SKIP_1) | instid1(VALU_DEP_2)
	v_dual_fmac_f32 v0, v147, v30 :: v_dual_lshlrev_b32 v171, 16, v172
	v_and_b32_e32 v172, 0xffff0000, v172
	v_fmac_f32_e32 v0, v148, v31
	s_delay_alu instid0(VALU_DEP_1) | instskip(NEXT) | instid1(VALU_DEP_1)
	v_fmac_f32_e32 v0, v149, v32
	v_fmac_f32_e32 v0, v150, v33
	s_delay_alu instid0(VALU_DEP_1) | instskip(NEXT) | instid1(VALU_DEP_1)
	v_fmac_f32_e32 v0, v151, v34
	;; [unrolled: 3-line block ×12, first 2 shown]
	v_fmac_f32_e32 v0, v55, v172
	ds_bpermute_b32 v1, v7, v0
	s_waitcnt lgkmcnt(0)
	v_add_f32_e32 v0, v0, v1
	ds_bpermute_b32 v1, v8, v0
	s_waitcnt lgkmcnt(0)
	v_add_f32_e32 v0, v0, v1
	;; [unrolled: 3-line block ×3, first 2 shown]
	s_delay_alu instid0(VALU_DEP_1) | instskip(NEXT) | instid1(VALU_DEP_1)
	v_cmp_ngt_f32_e64 s40, 0x3f200000, |v140|
	s_and_saveexec_b32 s41, s40
	s_delay_alu instid0(SALU_CYCLE_1)
	s_xor_b32 s40, exec_lo, s41
	s_cbranch_execz .LBB31_96
; %bb.95:                               ;   in Loop: Header=BB31_22 Depth=1
	v_add_f32_e64 v0, |v140|, |v140|
	s_delay_alu instid0(VALU_DEP_1) | instskip(SKIP_1) | instid1(VALU_DEP_2)
	v_mul_f32_e32 v1, 0x3fb8aa3b, v0
	v_cmp_ngt_f32_e32 vcc_lo, 0xc2ce8ed0, v0
	v_rndne_f32_e32 v2, v1
	v_fma_f32 v3, 0x3fb8aa3b, v0, -v1
	s_delay_alu instid0(VALU_DEP_2) | instskip(NEXT) | instid1(VALU_DEP_2)
	v_sub_f32_e32 v1, v1, v2
	v_fmac_f32_e32 v3, 0x32a5705f, v0
	v_cvt_i32_f32_e32 v2, v2
	s_delay_alu instid0(VALU_DEP_2) | instskip(NEXT) | instid1(VALU_DEP_1)
	v_add_f32_e32 v1, v1, v3
	v_exp_f32_e32 v1, v1
	s_waitcnt_depctr 0xfff
	v_ldexp_f32 v1, v1, v2
	s_delay_alu instid0(VALU_DEP_1) | instskip(SKIP_1) | instid1(VALU_DEP_2)
	v_cndmask_b32_e32 v1, 0, v1, vcc_lo
	v_cmp_nlt_f32_e32 vcc_lo, 0x42b17218, v0
	v_cndmask_b32_e32 v0, 0x7f800000, v1, vcc_lo
	s_delay_alu instid0(VALU_DEP_1) | instskip(NEXT) | instid1(VALU_DEP_1)
	v_add_f32_e32 v0, 1.0, v0
	v_rcp_f32_e32 v0, v0
	s_waitcnt_depctr 0xfff
	v_fma_f32 v173, v0, -2.0, 1.0
.LBB31_96:                              ;   in Loop: Header=BB31_22 Depth=1
	s_and_not1_saveexec_b32 s40, s40
; %bb.97:                               ;   in Loop: Header=BB31_22 Depth=1
	v_mul_f32_e32 v0, v140, v140
	s_delay_alu instid0(VALU_DEP_1) | instskip(NEXT) | instid1(VALU_DEP_1)
	v_fmaak_f32 v1, s38, v0, 0x3ca908c9
	v_fmaak_f32 v1, v0, v1, 0xbd5c1c4e
	s_delay_alu instid0(VALU_DEP_1) | instskip(NEXT) | instid1(VALU_DEP_1)
	v_fmaak_f32 v1, v0, v1, 0x3e088382
	v_fmaak_f32 v1, v0, v1, 0xbeaaaa99
	s_delay_alu instid0(VALU_DEP_1) | instskip(NEXT) | instid1(VALU_DEP_1)
	v_mul_f32_e64 v1, |v140|, v1
	v_fma_f32 v173, v0, v1, |v140|
; %bb.98:                               ;   in Loop: Header=BB31_22 Depth=1
	s_or_b32 exec_lo, exec_lo, s40
	s_delay_alu instid0(VALU_DEP_1) | instskip(SKIP_1) | instid1(VALU_DEP_1)
	v_bfi_b32 v0, 0x7fffffff, v173, v140
	s_and_not1_b32 vcc_lo, exec_lo, s10
	v_mul_f32_e32 v140, s37, v0
	s_cbranch_vccnz .LBB31_100
; %bb.99:                               ;   in Loop: Header=BB31_22 Depth=1
	global_load_u16 v0, v132, s[18:19] offset:12
	s_waitcnt vmcnt(0)
	v_fma_mix_f32 v140, v21, v0, v140 op_sel_hi:[0,1,0]
.LBB31_100:                             ;   in Loop: Header=BB31_22 Depth=1
	v_fma_f32 v0, v142, v56, 0
                                        ; implicit-def: $vgpr142
	s_delay_alu instid0(VALU_DEP_1) | instskip(NEXT) | instid1(VALU_DEP_1)
	v_fmac_f32_e32 v0, v141, v57
	v_fmac_f32_e32 v0, v143, v58
	s_delay_alu instid0(VALU_DEP_1) | instskip(NEXT) | instid1(VALU_DEP_1)
	v_fmac_f32_e32 v0, v144, v59
	v_fmac_f32_e32 v0, v145, v60
	;; [unrolled: 3-line block ×15, first 2 shown]
	s_delay_alu instid0(VALU_DEP_1)
	v_fmac_f32_e32 v0, v172, v87
	ds_bpermute_b32 v1, v7, v0
	s_waitcnt lgkmcnt(0)
	v_add_f32_e32 v0, v0, v1
	ds_bpermute_b32 v1, v8, v0
	s_waitcnt lgkmcnt(0)
	v_add_f32_e32 v0, v0, v1
	;; [unrolled: 3-line block ×3, first 2 shown]
	s_delay_alu instid0(VALU_DEP_1) | instskip(NEXT) | instid1(VALU_DEP_1)
	v_cmp_ngt_f32_e64 s40, 0x3f200000, |v141|
	s_and_saveexec_b32 s41, s40
	s_delay_alu instid0(SALU_CYCLE_1)
	s_xor_b32 s40, exec_lo, s41
	s_cbranch_execz .LBB31_102
; %bb.101:                              ;   in Loop: Header=BB31_22 Depth=1
	v_add_f32_e64 v0, |v141|, |v141|
	s_delay_alu instid0(VALU_DEP_1) | instskip(SKIP_1) | instid1(VALU_DEP_2)
	v_mul_f32_e32 v1, 0x3fb8aa3b, v0
	v_cmp_ngt_f32_e32 vcc_lo, 0xc2ce8ed0, v0
	v_rndne_f32_e32 v2, v1
	v_fma_f32 v3, 0x3fb8aa3b, v0, -v1
	s_delay_alu instid0(VALU_DEP_2) | instskip(NEXT) | instid1(VALU_DEP_2)
	v_sub_f32_e32 v1, v1, v2
	v_fmac_f32_e32 v3, 0x32a5705f, v0
	v_cvt_i32_f32_e32 v2, v2
	s_delay_alu instid0(VALU_DEP_2) | instskip(NEXT) | instid1(VALU_DEP_1)
	v_add_f32_e32 v1, v1, v3
	v_exp_f32_e32 v1, v1
	s_waitcnt_depctr 0xfff
	v_ldexp_f32 v1, v1, v2
	s_delay_alu instid0(VALU_DEP_1) | instskip(SKIP_1) | instid1(VALU_DEP_2)
	v_cndmask_b32_e32 v1, 0, v1, vcc_lo
	v_cmp_nlt_f32_e32 vcc_lo, 0x42b17218, v0
	v_cndmask_b32_e32 v0, 0x7f800000, v1, vcc_lo
	s_delay_alu instid0(VALU_DEP_1) | instskip(NEXT) | instid1(VALU_DEP_1)
	v_add_f32_e32 v0, 1.0, v0
	v_rcp_f32_e32 v0, v0
	s_waitcnt_depctr 0xfff
	v_fma_f32 v142, v0, -2.0, 1.0
.LBB31_102:                             ;   in Loop: Header=BB31_22 Depth=1
	s_and_not1_saveexec_b32 s40, s40
; %bb.103:                              ;   in Loop: Header=BB31_22 Depth=1
	v_mul_f32_e32 v0, v141, v141
	s_delay_alu instid0(VALU_DEP_1) | instskip(NEXT) | instid1(VALU_DEP_1)
	v_fmaak_f32 v1, s38, v0, 0x3ca908c9
	v_fmaak_f32 v1, v0, v1, 0xbd5c1c4e
	s_delay_alu instid0(VALU_DEP_1) | instskip(NEXT) | instid1(VALU_DEP_1)
	v_fmaak_f32 v1, v0, v1, 0x3e088382
	v_fmaak_f32 v1, v0, v1, 0xbeaaaa99
	s_delay_alu instid0(VALU_DEP_1) | instskip(NEXT) | instid1(VALU_DEP_1)
	v_mul_f32_e64 v1, |v141|, v1
	v_fma_f32 v142, v0, v1, |v141|
; %bb.104:                              ;   in Loop: Header=BB31_22 Depth=1
	s_or_b32 exec_lo, exec_lo, s40
	s_delay_alu instid0(VALU_DEP_1) | instskip(SKIP_1) | instid1(VALU_DEP_1)
	v_bfi_b32 v0, 0x7fffffff, v142, v141
	s_and_not1_b32 vcc_lo, exec_lo, s23
	v_mul_f32_e32 v141, s37, v0
	s_cbranch_vccnz .LBB31_106
; %bb.105:                              ;   in Loop: Header=BB31_22 Depth=1
	v_add_co_u32 v0, vcc_lo, s18, v123
	v_add_co_ci_u32_e32 v1, vcc_lo, s19, v124, vcc_lo
	global_load_u16 v0, v[0:1], off offset:12
	s_waitcnt vmcnt(0)
	v_fma_mix_f32 v141, v21, v0, v141 op_sel_hi:[0,1,0]
.LBB31_106:                             ;   in Loop: Header=BB31_22 Depth=1
	s_clause 0x1
	scratch_load_b32 v0, off, off offset:188
	scratch_load_b32 v1, off, off offset:192
	s_waitcnt vmcnt(1)
	v_add_co_u32 v0, vcc_lo, v133, v0
	s_waitcnt vmcnt(0)
	v_add_co_ci_u32_e32 v1, vcc_lo, v134, v1, vcc_lo
	s_clause 0x3
	global_load_b128 v[144:147], v[0:1], off
	global_load_b128 v[152:155], v[0:1], off offset:128
	global_load_b128 v[160:163], v[0:1], off offset:256
	;; [unrolled: 1-line block ×3, first 2 shown]
	s_waitcnt vmcnt(3)
	v_lshlrev_b32_e32 v164, 16, v144
	v_and_b32_e32 v134, 0xffff0000, v144
	v_lshlrev_b32_e32 v142, 16, v145
	v_lshlrev_b32_e32 v144, 16, v146
	s_waitcnt vmcnt(2)
	v_lshlrev_b32_e32 v150, 16, v153
	v_fma_f32 v0, v164, v24, 0
	v_and_b32_e32 v151, 0xffff0000, v153
	v_lshlrev_b32_e32 v148, 16, v152
	s_waitcnt vmcnt(1)
	v_lshlrev_b32_e32 v158, 16, v161
	v_lshlrev_b32_e32 v156, 16, v160
	v_fmac_f32_e32 v0, v134, v25
	v_and_b32_e32 v143, 0xffff0000, v145
	v_and_b32_e32 v145, 0xffff0000, v146
	v_lshlrev_b32_e32 v146, 16, v147
	s_waitcnt vmcnt(0)
	v_lshlrev_b32_e32 v168, 16, v171
	v_fmac_f32_e32 v0, v142, v26
	v_lshlrev_b32_e32 v166, 16, v170
	v_and_b32_e32 v149, 0xffff0000, v152
	v_lshlrev_b32_e32 v152, 16, v154
	v_and_b32_e32 v147, 0xffff0000, v147
	v_dual_fmac_f32 v0, v143, v27 :: v_dual_and_b32 v153, 0xffff0000, v154
	v_lshlrev_b32_e32 v154, 16, v155
	v_and_b32_e32 v155, 0xffff0000, v155
	v_and_b32_e32 v157, 0xffff0000, v160
	s_delay_alu instid0(VALU_DEP_4)
	v_fmac_f32_e32 v0, v144, v28
	v_lshlrev_b32_e32 v160, 16, v162
	v_and_b32_e32 v159, 0xffff0000, v161
	v_and_b32_e32 v161, 0xffff0000, v162
	v_lshlrev_b32_e32 v162, 16, v163
	v_dual_fmac_f32 v0, v145, v29 :: v_dual_and_b32 v165, 0xffff0000, v170
	v_lshlrev_b32_e32 v170, 16, v172
	v_and_b32_e32 v163, 0xffff0000, v163
	s_delay_alu instid0(VALU_DEP_3) | instskip(SKIP_3) | instid1(VALU_DEP_4)
	v_dual_fmac_f32 v0, v146, v30 :: v_dual_and_b32 v167, 0xffff0000, v171
	v_and_b32_e32 v169, 0xffff0000, v172
	v_lshlrev_b32_e32 v172, 16, v173
	v_and_b32_e32 v171, 0xffff0000, v173
                                        ; implicit-def: $vgpr173
	v_fmac_f32_e32 v0, v147, v31
	s_delay_alu instid0(VALU_DEP_1) | instskip(NEXT) | instid1(VALU_DEP_1)
	v_fmac_f32_e32 v0, v148, v32
	v_fmac_f32_e32 v0, v149, v33
	s_delay_alu instid0(VALU_DEP_1) | instskip(NEXT) | instid1(VALU_DEP_1)
	v_fmac_f32_e32 v0, v150, v34
	v_fmac_f32_e32 v0, v151, v35
	s_delay_alu instid0(VALU_DEP_1) | instskip(NEXT) | instid1(VALU_DEP_1)
	v_fmac_f32_e32 v0, v152, v36
	v_fmac_f32_e32 v0, v153, v37
	s_delay_alu instid0(VALU_DEP_1) | instskip(NEXT) | instid1(VALU_DEP_1)
	v_fmac_f32_e32 v0, v154, v38
	v_fmac_f32_e32 v0, v155, v39
	s_delay_alu instid0(VALU_DEP_1) | instskip(NEXT) | instid1(VALU_DEP_1)
	v_fmac_f32_e32 v0, v156, v40
	v_fmac_f32_e32 v0, v157, v41
	s_delay_alu instid0(VALU_DEP_1) | instskip(NEXT) | instid1(VALU_DEP_1)
	v_fmac_f32_e32 v0, v158, v42
	v_fmac_f32_e32 v0, v159, v43
	s_delay_alu instid0(VALU_DEP_1) | instskip(NEXT) | instid1(VALU_DEP_1)
	v_fmac_f32_e32 v0, v160, v44
	v_fmac_f32_e32 v0, v161, v45
	s_delay_alu instid0(VALU_DEP_1) | instskip(NEXT) | instid1(VALU_DEP_1)
	v_fmac_f32_e32 v0, v162, v46
	v_fmac_f32_e32 v0, v163, v47
	s_delay_alu instid0(VALU_DEP_1) | instskip(NEXT) | instid1(VALU_DEP_1)
	v_fmac_f32_e32 v0, v166, v48
	v_fmac_f32_e32 v0, v165, v49
	s_delay_alu instid0(VALU_DEP_1) | instskip(NEXT) | instid1(VALU_DEP_1)
	v_fmac_f32_e32 v0, v168, v50
	v_fmac_f32_e32 v0, v167, v51
	s_delay_alu instid0(VALU_DEP_1) | instskip(NEXT) | instid1(VALU_DEP_1)
	v_fmac_f32_e32 v0, v170, v52
	v_fmac_f32_e32 v0, v169, v53
	s_delay_alu instid0(VALU_DEP_1) | instskip(NEXT) | instid1(VALU_DEP_1)
	v_fmac_f32_e32 v0, v172, v54
	v_fmac_f32_e32 v0, v171, v55
	ds_bpermute_b32 v1, v7, v0
	s_waitcnt lgkmcnt(0)
	v_add_f32_e32 v0, v0, v1
	ds_bpermute_b32 v1, v8, v0
	s_waitcnt lgkmcnt(0)
	v_add_f32_e32 v0, v0, v1
	;; [unrolled: 3-line block ×3, first 2 shown]
	s_delay_alu instid0(VALU_DEP_1) | instskip(NEXT) | instid1(VALU_DEP_1)
	v_cmp_ngt_f32_e64 s40, 0x3f200000, |v133|
	s_and_saveexec_b32 s41, s40
	s_delay_alu instid0(SALU_CYCLE_1)
	s_xor_b32 s40, exec_lo, s41
	s_cbranch_execz .LBB31_108
; %bb.107:                              ;   in Loop: Header=BB31_22 Depth=1
	v_add_f32_e64 v0, |v133|, |v133|
	s_delay_alu instid0(VALU_DEP_1) | instskip(SKIP_1) | instid1(VALU_DEP_2)
	v_mul_f32_e32 v1, 0x3fb8aa3b, v0
	v_cmp_ngt_f32_e32 vcc_lo, 0xc2ce8ed0, v0
	v_rndne_f32_e32 v2, v1
	v_fma_f32 v3, 0x3fb8aa3b, v0, -v1
	s_delay_alu instid0(VALU_DEP_2) | instskip(NEXT) | instid1(VALU_DEP_2)
	v_sub_f32_e32 v1, v1, v2
	v_fmac_f32_e32 v3, 0x32a5705f, v0
	v_cvt_i32_f32_e32 v2, v2
	s_delay_alu instid0(VALU_DEP_2) | instskip(NEXT) | instid1(VALU_DEP_1)
	v_add_f32_e32 v1, v1, v3
	v_exp_f32_e32 v1, v1
	s_waitcnt_depctr 0xfff
	v_ldexp_f32 v1, v1, v2
	s_delay_alu instid0(VALU_DEP_1) | instskip(SKIP_1) | instid1(VALU_DEP_2)
	v_cndmask_b32_e32 v1, 0, v1, vcc_lo
	v_cmp_nlt_f32_e32 vcc_lo, 0x42b17218, v0
	v_cndmask_b32_e32 v0, 0x7f800000, v1, vcc_lo
	s_delay_alu instid0(VALU_DEP_1) | instskip(NEXT) | instid1(VALU_DEP_1)
	v_add_f32_e32 v0, 1.0, v0
	v_rcp_f32_e32 v0, v0
	s_waitcnt_depctr 0xfff
	v_fma_f32 v173, v0, -2.0, 1.0
.LBB31_108:                             ;   in Loop: Header=BB31_22 Depth=1
	s_and_not1_saveexec_b32 s40, s40
; %bb.109:                              ;   in Loop: Header=BB31_22 Depth=1
	v_mul_f32_e32 v0, v133, v133
	s_delay_alu instid0(VALU_DEP_1) | instskip(NEXT) | instid1(VALU_DEP_1)
	v_fmaak_f32 v1, s38, v0, 0x3ca908c9
	v_fmaak_f32 v1, v0, v1, 0xbd5c1c4e
	s_delay_alu instid0(VALU_DEP_1) | instskip(NEXT) | instid1(VALU_DEP_1)
	v_fmaak_f32 v1, v0, v1, 0x3e088382
	v_fmaak_f32 v1, v0, v1, 0xbeaaaa99
	s_delay_alu instid0(VALU_DEP_1) | instskip(NEXT) | instid1(VALU_DEP_1)
	v_mul_f32_e64 v1, |v133|, v1
	v_fma_f32 v173, v0, v1, |v133|
; %bb.110:                              ;   in Loop: Header=BB31_22 Depth=1
	s_or_b32 exec_lo, exec_lo, s40
	s_delay_alu instid0(VALU_DEP_1) | instskip(SKIP_1) | instid1(VALU_DEP_1)
	v_bfi_b32 v0, 0x7fffffff, v173, v133
	s_and_not1_b32 vcc_lo, exec_lo, s10
	v_mul_f32_e32 v133, s37, v0
	s_cbranch_vccnz .LBB31_112
; %bb.111:                              ;   in Loop: Header=BB31_22 Depth=1
	global_load_u16 v0, v132, s[18:19] offset:14
	s_waitcnt vmcnt(0)
	v_fma_mix_f32 v133, v21, v0, v133 op_sel_hi:[0,1,0]
.LBB31_112:                             ;   in Loop: Header=BB31_22 Depth=1
	v_fma_f32 v0, v164, v56, 0
	s_delay_alu instid0(VALU_DEP_1) | instskip(NEXT) | instid1(VALU_DEP_1)
	v_fmac_f32_e32 v0, v134, v57
                                        ; implicit-def: $vgpr134
	v_fmac_f32_e32 v0, v142, v58
	s_delay_alu instid0(VALU_DEP_1) | instskip(NEXT) | instid1(VALU_DEP_1)
	v_fmac_f32_e32 v0, v143, v59
	v_fmac_f32_e32 v0, v144, v60
	s_delay_alu instid0(VALU_DEP_1) | instskip(NEXT) | instid1(VALU_DEP_1)
	v_fmac_f32_e32 v0, v145, v61
	;; [unrolled: 3-line block ×14, first 2 shown]
	v_fmac_f32_e32 v0, v172, v86
	s_delay_alu instid0(VALU_DEP_1)
	v_fmac_f32_e32 v0, v171, v87
	ds_bpermute_b32 v1, v7, v0
	s_waitcnt lgkmcnt(0)
	v_add_f32_e32 v0, v0, v1
	ds_bpermute_b32 v1, v8, v0
	s_waitcnt lgkmcnt(0)
	v_add_f32_e32 v0, v0, v1
	;; [unrolled: 3-line block ×3, first 2 shown]
	s_delay_alu instid0(VALU_DEP_1) | instskip(NEXT) | instid1(VALU_DEP_1)
	v_cmp_ngt_f32_e64 s40, 0x3f200000, |v132|
	s_and_saveexec_b32 s41, s40
	s_delay_alu instid0(SALU_CYCLE_1)
	s_xor_b32 s40, exec_lo, s41
	s_cbranch_execz .LBB31_114
; %bb.113:                              ;   in Loop: Header=BB31_22 Depth=1
	v_add_f32_e64 v0, |v132|, |v132|
	s_delay_alu instid0(VALU_DEP_1) | instskip(SKIP_1) | instid1(VALU_DEP_2)
	v_mul_f32_e32 v1, 0x3fb8aa3b, v0
	v_cmp_ngt_f32_e32 vcc_lo, 0xc2ce8ed0, v0
	v_rndne_f32_e32 v2, v1
	v_fma_f32 v3, 0x3fb8aa3b, v0, -v1
	s_delay_alu instid0(VALU_DEP_2) | instskip(NEXT) | instid1(VALU_DEP_2)
	v_sub_f32_e32 v1, v1, v2
	v_fmac_f32_e32 v3, 0x32a5705f, v0
	v_cvt_i32_f32_e32 v2, v2
	s_delay_alu instid0(VALU_DEP_2) | instskip(NEXT) | instid1(VALU_DEP_1)
	v_add_f32_e32 v1, v1, v3
	v_exp_f32_e32 v1, v1
	s_waitcnt_depctr 0xfff
	v_ldexp_f32 v1, v1, v2
	s_delay_alu instid0(VALU_DEP_1) | instskip(SKIP_1) | instid1(VALU_DEP_2)
	v_cndmask_b32_e32 v1, 0, v1, vcc_lo
	v_cmp_nlt_f32_e32 vcc_lo, 0x42b17218, v0
	v_cndmask_b32_e32 v0, 0x7f800000, v1, vcc_lo
	s_delay_alu instid0(VALU_DEP_1) | instskip(NEXT) | instid1(VALU_DEP_1)
	v_add_f32_e32 v0, 1.0, v0
	v_rcp_f32_e32 v0, v0
	s_waitcnt_depctr 0xfff
	v_fma_f32 v134, v0, -2.0, 1.0
.LBB31_114:                             ;   in Loop: Header=BB31_22 Depth=1
	s_and_not1_saveexec_b32 s40, s40
; %bb.115:                              ;   in Loop: Header=BB31_22 Depth=1
	v_mul_f32_e32 v0, v132, v132
	s_delay_alu instid0(VALU_DEP_1) | instskip(NEXT) | instid1(VALU_DEP_1)
	v_fmaak_f32 v1, s38, v0, 0x3ca908c9
	v_fmaak_f32 v1, v0, v1, 0xbd5c1c4e
	s_delay_alu instid0(VALU_DEP_1) | instskip(NEXT) | instid1(VALU_DEP_1)
	v_fmaak_f32 v1, v0, v1, 0x3e088382
	v_fmaak_f32 v1, v0, v1, 0xbeaaaa99
	s_delay_alu instid0(VALU_DEP_1) | instskip(NEXT) | instid1(VALU_DEP_1)
	v_mul_f32_e64 v1, |v132|, v1
	v_fma_f32 v134, v0, v1, |v132|
; %bb.116:                              ;   in Loop: Header=BB31_22 Depth=1
	s_or_b32 exec_lo, exec_lo, s40
	s_delay_alu instid0(VALU_DEP_1) | instskip(SKIP_1) | instid1(VALU_DEP_1)
	v_bfi_b32 v0, 0x7fffffff, v134, v132
	s_and_not1_b32 vcc_lo, exec_lo, s23
	v_mul_f32_e32 v132, s37, v0
	s_cbranch_vccnz .LBB31_118
; %bb.117:                              ;   in Loop: Header=BB31_22 Depth=1
	v_add_co_u32 v0, vcc_lo, s18, v123
	v_add_co_ci_u32_e32 v1, vcc_lo, s19, v124, vcc_lo
	global_load_u16 v0, v[0:1], off offset:14
	s_waitcnt vmcnt(0)
	v_fma_mix_f32 v132, v21, v0, v132 op_sel_hi:[0,1,0]
.LBB31_118:                             ;   in Loop: Header=BB31_22 Depth=1
	v_add_f32_e32 v0, 0x40051340, v5
	v_dual_add_f32 v1, 0x40051340, v13 :: v_dual_add_f32 v2, 0x40051340, v131
	s_add_i32 s16, s26, s16
	s_add_u32 s17, s17, s21
	s_addc_u32 s20, s20, 0
	s_delay_alu instid0(VALU_DEP_1) | instskip(SKIP_2) | instid1(VALU_DEP_2)
	v_max3_f32 v0, v4, v0, v1
	v_add_f32_e32 v1, 0x40051340, v129
	v_add_f32_e32 v3, 0x40051340, v139
	v_max3_f32 v134, v0, v1, v2
	v_add_f32_e32 v0, 0x40051340, v12
	v_dual_add_f32 v1, 0x40051340, v128 :: v_dual_add_f32 v2, 0x40051340, v135
	s_delay_alu instid0(VALU_DEP_1) | instskip(SKIP_1) | instid1(VALU_DEP_1)
	v_max3_f32 v0, v127, v0, v1
	v_add_f32_e32 v1, 0x40051340, v130
	v_max3_f32 v0, v0, v1, v2
	v_dual_add_f32 v1, 0x40051340, v136 :: v_dual_add_f32 v2, 0x40051340, v138
	s_delay_alu instid0(VALU_DEP_1) | instskip(SKIP_1) | instid1(VALU_DEP_1)
	v_max3_f32 v1, v134, v1, v2
	v_add_f32_e32 v2, 0x40051340, v137
	v_max3_f32 v0, v0, v2, v3
	v_dual_add_f32 v2, 0x40051340, v140 :: v_dual_add_f32 v3, 0x40051340, v133
	s_delay_alu instid0(VALU_DEP_1) | instskip(SKIP_1) | instid1(VALU_DEP_1)
	v_max3_f32 v1, v1, v2, v3
	v_dual_add_f32 v2, 0x40051340, v141 :: v_dual_add_f32 v3, 0x40051340, v132
	v_max3_f32 v0, v0, v2, v3
	v_cndmask_b32_e64 v2, v125, v5, s2
	ds_bpermute_b32 v5, v89, v1
	v_cndmask_b32_e64 v3, v126, v12, s2
	v_cndmask_b32_e64 v2, v2, v13, s3
	s_delay_alu instid0(VALU_DEP_2) | instskip(NEXT) | instid1(VALU_DEP_2)
	v_cndmask_b32_e64 v3, v3, v128, s3
	v_cndmask_b32_e64 v2, v2, v129, s4
	s_delay_alu instid0(VALU_DEP_2) | instskip(NEXT) | instid1(VALU_DEP_2)
	;; [unrolled: 3-line block ×3, first 2 shown]
	v_cndmask_b32_e64 v3, v3, v135, s5
	v_cndmask_b32_e64 v2, v2, v136, s6
	s_waitcnt lgkmcnt(0)
	v_max_f32_e32 v5, v5, v5
	s_delay_alu instid0(VALU_DEP_3) | instskip(NEXT) | instid1(VALU_DEP_3)
	v_cndmask_b32_e64 v3, v3, v137, s6
	v_cndmask_b32_e64 v2, v2, v138, s7
	s_delay_alu instid0(VALU_DEP_3)
	v_max_f32_e32 v1, v1, v5
	ds_bpermute_b32 v5, v89, v0
	v_cndmask_b32_e64 v3, v3, v139, s7
	scratch_load_b128 v[135:138], off, off offset:16
	v_cndmask_b32_e64 v2, v2, v140, s8
	v_cndmask_b32_e64 v3, v3, v141, s8
	s_waitcnt lgkmcnt(0)
	v_max_f32_e32 v5, v5, v5
	s_delay_alu instid0(VALU_DEP_1)
	v_max_f32_e32 v0, v0, v5
	ds_bpermute_b32 v5, v90, v1
	ds_bpermute_b32 v12, v90, v0
	s_waitcnt lgkmcnt(1)
	v_max_f32_e32 v5, v5, v5
	s_waitcnt lgkmcnt(0)
	s_delay_alu instid0(VALU_DEP_1)
	v_dual_max_f32 v13, v12, v12 :: v_dual_max_f32 v12, v1, v5
	v_cndmask_b32_e64 v1, v2, v133, s9
	v_cndmask_b32_e64 v2, v3, v132, s9
	scratch_load_b128 v[131:134], off, off
	v_sub_f32_e32 v1, v1, v12
	v_max_f32_e32 v13, v0, v13
	v_sub_f32_e32 v0, v4, v12
	s_delay_alu instid0(VALU_DEP_1) | instskip(SKIP_1) | instid1(VALU_DEP_2)
	v_dual_mul_f32 v4, 0x3fb8aa3b, v1 :: v_dual_mul_f32 v3, 0x3fb8aa3b, v0
	v_cmp_ngt_f32_e32 vcc_lo, 0xc2ce8ed0, v0
	v_fma_f32 v16, 0x3fb8aa3b, v1, -v4
	v_rndne_f32_e32 v22, v4
	s_delay_alu instid0(VALU_DEP_4) | instskip(SKIP_1) | instid1(VALU_DEP_4)
	v_fma_f32 v14, 0x3fb8aa3b, v0, -v3
	v_rndne_f32_e32 v15, v3
	v_fmac_f32_e32 v16, 0x32a5705f, v1
	s_delay_alu instid0(VALU_DEP_4) | instskip(NEXT) | instid1(VALU_DEP_3)
	v_sub_f32_e32 v4, v4, v22
	v_dual_fmac_f32 v14, 0x32a5705f, v0 :: v_dual_sub_f32 v3, v3, v15
	s_delay_alu instid0(VALU_DEP_1) | instskip(SKIP_1) | instid1(VALU_DEP_2)
	v_dual_add_f32 v4, v4, v16 :: v_dual_add_f32 v3, v3, v14
	v_cvt_i32_f32_e32 v14, v15
	v_exp_f32_e32 v4, v4
	s_delay_alu instid0(VALU_DEP_2) | instskip(SKIP_3) | instid1(VALU_DEP_2)
	v_exp_f32_e32 v3, v3
	s_waitcnt_depctr 0xfff
	v_ldexp_f32 v3, v3, v14
	v_cvt_i32_f32_e32 v14, v22
	v_cndmask_b32_e32 v3, 0, v3, vcc_lo
	v_cmp_nlt_f32_e32 vcc_lo, 0x42b17218, v0
	s_delay_alu instid0(VALU_DEP_3) | instskip(NEXT) | instid1(VALU_DEP_3)
	v_ldexp_f32 v4, v4, v14
	v_cndmask_b32_e32 v128, 0x7f800000, v3, vcc_lo
	v_sub_f32_e32 v2, v2, v13
	v_cmp_ngt_f32_e32 vcc_lo, 0xc2ce8ed0, v1
	s_delay_alu instid0(VALU_DEP_3) | instskip(NEXT) | instid1(VALU_DEP_3)
	v_cvt_f16_f32_e64 v130, v128
	v_dual_mul_f32 v5, 0x3fb8aa3b, v2 :: v_dual_cndmask_b32 v0, 0, v4
	s_delay_alu instid0(VALU_DEP_1) | instskip(SKIP_1) | instid1(VALU_DEP_1)
	v_fma_f32 v17, 0x3fb8aa3b, v2, -v5
	v_rndne_f32_e32 v23, v5
	v_sub_f32_e32 v5, v5, v23
	s_delay_alu instid0(VALU_DEP_3) | instskip(SKIP_2) | instid1(VALU_DEP_3)
	v_fmac_f32_e32 v17, 0x32a5705f, v2
	v_cvt_i32_f32_e32 v15, v23
	v_cmp_ngt_f32_e32 vcc_lo, 0xc2ce8ed0, v2
	v_add_f32_e32 v5, v5, v17
	s_delay_alu instid0(VALU_DEP_1) | instskip(SKIP_2) | instid1(VALU_DEP_1)
	v_exp_f32_e32 v5, v5
	s_waitcnt_depctr 0xfff
	v_ldexp_f32 v5, v5, v15
	v_cndmask_b32_e32 v3, 0, v5, vcc_lo
	v_cmp_nlt_f32_e32 vcc_lo, 0x42b17218, v1
	scratch_load_b32 v1, off, off offset:196 ; 4-byte Folded Reload
	v_cndmask_b32_e32 v125, 0x7f800000, v0, vcc_lo
	scratch_load_b32 v0, off, off offset:140 ; 4-byte Folded Reload
	v_cmp_nlt_f32_e32 vcc_lo, 0x42b17218, v2
	v_cvt_f16_f32_e32 v2, v125
	v_fma_f32 v10, v10, v128, v125
	v_cndmask_b32_e32 v126, 0x7f800000, v3, vcc_lo
	s_delay_alu instid0(VALU_DEP_1)
	v_cvt_f16_f32_e32 v3, v126
	ds_store_b16 v19, v2
	ds_store_b16 v19, v3 offset:256
	s_waitcnt vmcnt(2)
	v_pk_mul_f16 v139, v130, v131 op_sel_hi:[0,1]
	v_pk_mul_f16 v140, v130, v132 op_sel_hi:[0,1]
	;; [unrolled: 1-line block ×8, first 2 shown]
	s_clause 0x1
	scratch_store_b128 off, v[139:142], off
	scratch_store_b128 off, v[131:134], off offset:16
	ds_load_u16 v131, v91
	ds_load_u16 v129, v91 offset:8
	ds_load_u16 v132, v91 offset:16
	;; [unrolled: 1-line block ×7, first 2 shown]
	s_waitcnt vmcnt(0)
	v_add_co_u32 v0, vcc_lo, s11, v0
	v_add_co_ci_u32_e32 v1, vcc_lo, s13, v1, vcc_lo
	s_delay_alu instid0(VALU_DEP_2) | instskip(NEXT) | instid1(VALU_DEP_2)
	v_add_co_u32 v4, vcc_lo, v0, v105
	v_add_co_ci_u32_e32 v5, vcc_lo, 0, v1, vcc_lo
	s_clause 0x1
	global_load_b128 v[134:137], v[4:5], off
	global_load_b128 v[143:146], v[4:5], off offset:128
	v_sub_f32_e32 v0, v127, v13
	s_clause 0x1
	scratch_load_b128 v[147:150], off, off offset:80
	scratch_load_b128 v[151:154], off, off offset:96
	v_mul_f32_e32 v1, 0x3fb8aa3b, v0
	v_cmp_ngt_f32_e32 vcc_lo, 0xc2ce8ed0, v0
	s_delay_alu instid0(VALU_DEP_2) | instskip(SKIP_1) | instid1(VALU_DEP_1)
	v_fma_f32 v2, 0x3fb8aa3b, v0, -v1
	v_rndne_f32_e32 v3, v1
	v_dual_fmac_f32 v2, 0x32a5705f, v0 :: v_dual_sub_f32 v1, v1, v3
	s_delay_alu instid0(VALU_DEP_1) | instskip(SKIP_1) | instid1(VALU_DEP_2)
	v_add_f32_e32 v1, v1, v2
	v_cvt_i32_f32_e32 v2, v3
	v_exp_f32_e32 v1, v1
	s_waitcnt_depctr 0xfff
	v_ldexp_f32 v1, v1, v2
	s_delay_alu instid0(VALU_DEP_1)
	v_cndmask_b32_e32 v1, 0, v1, vcc_lo
	v_cmp_nlt_f32_e32 vcc_lo, 0x42b17218, v0
	scratch_load_b32 v0, off, off offset:144 ; 4-byte Folded Reload
	v_cndmask_b32_e32 v127, 0x7f800000, v1, vcc_lo
	scratch_load_b32 v1, off, off offset:200 ; 4-byte Folded Reload
	v_cvt_f16_f32_e32 v18, v127
	v_fma_f32 v11, v11, v127, v126
	s_waitcnt vmcnt(5) lgkmcnt(7)
	v_pk_fma_f16 v138, v134, v131, v139 op_sel_hi:[1,0,1]
	v_pk_fma_f16 v139, v135, v131, v140 op_sel_hi:[1,0,1]
	;; [unrolled: 1-line block ×4, first 2 shown]
	s_waitcnt vmcnt(3)
	v_pk_mul_f16 v150, v18, v150 op_sel_hi:[0,1]
	s_waitcnt vmcnt(2)
	v_pk_mul_f16 v151, v18, v151 op_sel_hi:[0,1]
	v_pk_mul_f16 v152, v18, v152 op_sel_hi:[0,1]
	;; [unrolled: 1-line block ×3, first 2 shown]
	scratch_store_b128 off, v[138:141], off
	scratch_load_b128 v[138:141], off, off offset:16
	s_waitcnt vmcnt(2)
	v_add_co_u32 v0, vcc_lo, s11, v0
	s_waitcnt vmcnt(1)
	v_add_co_ci_u32_e32 v1, vcc_lo, s13, v1, vcc_lo
	s_delay_alu instid0(VALU_DEP_2) | instskip(NEXT) | instid1(VALU_DEP_2)
	v_add_co_u32 v0, vcc_lo, v0, v105
	v_add_co_ci_u32_e32 v1, vcc_lo, 0, v1, vcc_lo
	scratch_load_b128 v[155:158], off, off
	s_clause 0x1
	global_load_b128 v[159:162], v[0:1], off
	global_load_b128 v[163:166], v[0:1], off offset:128
	s_waitcnt vmcnt(3)
	v_pk_fma_f16 v138, v143, v131, v138 op_sel_hi:[1,0,1]
	v_pk_fma_f16 v139, v144, v131, v139 op_sel_hi:[1,0,1]
	;; [unrolled: 1-line block ×4, first 2 shown]
	s_waitcnt vmcnt(1) lgkmcnt(6)
	v_pk_fma_f16 v155, v159, v129, v155 op_sel_hi:[1,0,1]
	v_pk_fma_f16 v156, v160, v129, v156 op_sel_hi:[1,0,1]
	v_pk_fma_f16 v157, v161, v129, v157 op_sel_hi:[1,0,1]
	v_pk_fma_f16 v158, v162, v129, v158 op_sel_hi:[1,0,1]
	s_clause 0x1
	scratch_store_b128 off, v[138:141], off offset:16
	scratch_store_b128 off, v[155:158], off
	s_clause 0x3
	scratch_load_b128 v[138:141], off, off offset:16
	scratch_load_b128 v[155:158], off, off
	scratch_load_b32 v2, off, off offset:152
	scratch_load_b32 v3, off, off offset:204
	s_waitcnt vmcnt(3)
	v_pk_fma_f16 v138, v163, v129, v138 op_sel_hi:[1,0,1]
	v_pk_fma_f16 v139, v164, v129, v139 op_sel_hi:[1,0,1]
	v_pk_fma_f16 v140, v165, v129, v140 op_sel_hi:[1,0,1]
	v_pk_fma_f16 v141, v166, v129, v141 op_sel_hi:[1,0,1]
	s_waitcnt vmcnt(1)
	v_add_co_u32 v2, vcc_lo, s11, v2
	s_waitcnt vmcnt(0)
	v_add_co_ci_u32_e32 v3, vcc_lo, s13, v3, vcc_lo
	s_delay_alu instid0(VALU_DEP_2) | instskip(NEXT) | instid1(VALU_DEP_2)
	v_add_co_u32 v2, vcc_lo, v2, v105
	v_add_co_ci_u32_e32 v3, vcc_lo, 0, v3, vcc_lo
	s_clause 0x1
	global_load_b128 v[167:170], v[2:3], off
	global_load_b128 v[171:174], v[2:3], off offset:128
	s_waitcnt vmcnt(1) lgkmcnt(5)
	v_pk_fma_f16 v155, v167, v132, v155 op_sel_hi:[1,0,1]
	v_pk_fma_f16 v156, v168, v132, v156 op_sel_hi:[1,0,1]
	v_pk_fma_f16 v157, v169, v132, v157 op_sel_hi:[1,0,1]
	v_pk_fma_f16 v158, v170, v132, v158 op_sel_hi:[1,0,1]
	s_clause 0x1
	scratch_store_b128 off, v[138:141], off offset:16
	scratch_store_b128 off, v[155:158], off
	s_clause 0x3
	scratch_load_b128 v[138:141], off, off offset:16
	scratch_load_b128 v[155:158], off, off
	scratch_load_b32 v14, off, off offset:156
	scratch_load_b32 v15, off, off offset:208
	s_waitcnt vmcnt(3)
	v_pk_fma_f16 v138, v171, v132, v138 op_sel_hi:[1,0,1]
	v_pk_fma_f16 v139, v172, v132, v139 op_sel_hi:[1,0,1]
	v_pk_fma_f16 v140, v173, v132, v140 op_sel_hi:[1,0,1]
	v_pk_fma_f16 v141, v174, v132, v141 op_sel_hi:[1,0,1]
	s_waitcnt vmcnt(1)
	v_add_co_u32 v14, vcc_lo, s11, v14
	s_waitcnt vmcnt(0)
	v_add_co_ci_u32_e32 v15, vcc_lo, s13, v15, vcc_lo
	s_delay_alu instid0(VALU_DEP_2) | instskip(NEXT) | instid1(VALU_DEP_2)
	v_add_co_u32 v14, vcc_lo, v14, v105
	v_add_co_ci_u32_e32 v15, vcc_lo, 0, v15, vcc_lo
	s_clause 0x1
	global_load_b128 v[175:178], v[14:15], off
	global_load_b128 v[179:182], v[14:15], off offset:128
	;; [unrolled: 28-line block ×5, first 2 shown]
	s_waitcnt vmcnt(1) lgkmcnt(1)
	v_pk_fma_f16 v155, v199, v100, v155 op_sel_hi:[1,0,1]
	v_pk_fma_f16 v156, v200, v100, v156 op_sel_hi:[1,0,1]
	;; [unrolled: 1-line block ×4, first 2 shown]
	s_clause 0x1
	scratch_store_b128 off, v[138:141], off offset:16
	scratch_store_b128 off, v[155:158], off
	s_clause 0x3
	scratch_load_b128 v[138:141], off, off offset:16
	scratch_load_b128 v[155:158], off, off
	scratch_load_b32 v22, off, off offset:172
	scratch_load_b32 v23, off, off offset:224
	s_waitcnt vmcnt(3)
	v_pk_fma_f16 v138, v203, v100, v138 op_sel_hi:[1,0,1]
	v_pk_fma_f16 v139, v204, v100, v139 op_sel_hi:[1,0,1]
	;; [unrolled: 1-line block ×4, first 2 shown]
	s_waitcnt vmcnt(1)
	v_add_co_u32 v22, vcc_lo, s11, v22
	s_add_u32 s11, s11, s22
	s_waitcnt vmcnt(0)
	v_add_co_ci_u32_e32 v23, vcc_lo, s13, v23, vcc_lo
	s_addc_u32 s13, s13, 0
	s_lshl_b64 s[40:41], s[26:27], 1
	v_add_co_u32 v22, vcc_lo, v22, v105
	s_add_u32 s18, s18, s40
	s_addc_u32 s19, s19, s41
	s_cmp_ge_i32 s16, s39
	v_add_co_ci_u32_e32 v23, vcc_lo, 0, v23, vcc_lo
	s_clause 0x1
	global_load_b128 v[207:210], v[22:23], off
	global_load_b128 v[211:214], v[22:23], off offset:128
	scratch_store_b128 off, v[138:141], off offset:16
	s_clause 0x2
	scratch_load_b128 v[138:141], off, off offset:32
	scratch_load_b128 v[215:218], off, off offset:16
	scratch_load_b128 v[219:222], off, off offset:48
	s_waitcnt vmcnt(4) lgkmcnt(0)
	v_pk_fma_f16 v155, v207, v6, v155 op_sel_hi:[1,0,1]
	v_pk_fma_f16 v156, v208, v6, v156 op_sel_hi:[1,0,1]
	;; [unrolled: 1-line block ×4, first 2 shown]
	s_waitcnt vmcnt(2)
	v_pk_mul_f16 v138, v130, v138 op_sel_hi:[0,1]
	v_pk_mul_f16 v139, v130, v139 op_sel_hi:[0,1]
	;; [unrolled: 1-line block ×4, first 2 shown]
	s_waitcnt vmcnt(0)
	v_pk_mul_f16 v219, v130, v219 op_sel_hi:[0,1]
	v_pk_mul_f16 v220, v130, v220 op_sel_hi:[0,1]
	;; [unrolled: 1-line block ×4, first 2 shown]
	v_pk_fma_f16 v215, v211, v6, v215 op_sel_hi:[1,0,1]
	v_pk_fma_f16 v216, v212, v6, v216 op_sel_hi:[1,0,1]
	v_pk_fma_f16 v217, v213, v6, v217 op_sel_hi:[1,0,1]
	v_pk_fma_f16 v218, v214, v6, v218 op_sel_hi:[1,0,1]
	scratch_store_b128 off, v[138:141], off offset:32
	s_clause 0x1
	global_load_b128 v[138:141], v[4:5], off offset:256
	global_load_b128 v[223:226], v[4:5], off offset:384
	scratch_load_b128 v[227:230], off, off offset:32
	s_waitcnt vmcnt(0)
	v_pk_fma_f16 v227, v138, v131, v227 op_sel_hi:[1,0,1]
	v_pk_fma_f16 v228, v139, v131, v228 op_sel_hi:[1,0,1]
	;; [unrolled: 1-line block ×4, first 2 shown]
	scratch_store_b128 off, v[219:222], off offset:48
	scratch_load_b128 v[219:222], off, off offset:48
	scratch_store_b128 off, v[227:230], off offset:32
	s_clause 0x1
	global_load_b128 v[227:230], v[0:1], off offset:256
	global_load_b128 v[231:234], v[0:1], off offset:384
	scratch_load_b128 v[235:238], off, off offset:32
	s_waitcnt vmcnt(3)
	v_pk_fma_f16 v219, v223, v131, v219 op_sel_hi:[1,0,1]
	v_pk_fma_f16 v220, v224, v131, v220 op_sel_hi:[1,0,1]
	;; [unrolled: 1-line block ×4, first 2 shown]
	s_waitcnt vmcnt(0)
	v_pk_fma_f16 v235, v227, v129, v235 op_sel_hi:[1,0,1]
	v_pk_fma_f16 v236, v228, v129, v236 op_sel_hi:[1,0,1]
	;; [unrolled: 1-line block ×4, first 2 shown]
	s_clause 0x1
	scratch_store_b128 off, v[219:222], off offset:48
	scratch_store_b128 off, v[235:238], off offset:32
	s_clause 0x1
	scratch_load_b128 v[219:222], off, off offset:48
	scratch_load_b128 v[235:238], off, off offset:32
	s_clause 0x1
	global_load_b128 v[239:242], v[2:3], off offset:256
	global_load_b128 v[243:246], v[2:3], off offset:384
	s_waitcnt vmcnt(3)
	v_pk_fma_f16 v219, v231, v129, v219 op_sel_hi:[1,0,1]
	v_pk_fma_f16 v220, v232, v129, v220 op_sel_hi:[1,0,1]
	v_pk_fma_f16 v221, v233, v129, v221 op_sel_hi:[1,0,1]
	v_pk_fma_f16 v222, v234, v129, v222 op_sel_hi:[1,0,1]
	s_waitcnt vmcnt(1)
	v_pk_fma_f16 v235, v239, v132, v235 op_sel_hi:[1,0,1]
	v_pk_fma_f16 v236, v240, v132, v236 op_sel_hi:[1,0,1]
	;; [unrolled: 1-line block ×4, first 2 shown]
	s_clause 0x1
	scratch_store_b128 off, v[219:222], off offset:48
	scratch_store_b128 off, v[235:238], off offset:32
	s_clause 0x1
	scratch_load_b128 v[219:222], off, off offset:48
	scratch_load_b128 v[235:238], off, off offset:32
	s_waitcnt vmcnt(1)
	v_pk_fma_f16 v129, v243, v132, v219 op_sel_hi:[1,0,1]
	v_pk_fma_f16 v130, v244, v132, v220 op_sel_hi:[1,0,1]
	;; [unrolled: 1-line block ×4, first 2 shown]
	s_clause 0x1
	global_load_b128 v[219:222], v[14:15], off offset:256
	global_load_b128 v[247:250], v[14:15], off offset:384
	s_waitcnt vmcnt(1)
	v_pk_fma_f16 v235, v219, v133, v235 op_sel_hi:[1,0,1]
	v_pk_fma_f16 v236, v220, v133, v236 op_sel_hi:[1,0,1]
	v_pk_fma_f16 v237, v221, v133, v237 op_sel_hi:[1,0,1]
	v_pk_fma_f16 v238, v222, v133, v238 op_sel_hi:[1,0,1]
	s_clause 0x1
	scratch_store_b128 off, v[129:132], off offset:48
	scratch_store_b128 off, v[235:238], off offset:32
	s_clause 0x1
	scratch_load_b128 v[129:132], off, off offset:48
	scratch_load_b128 v[235:238], off, off offset:32
	s_clause 0x1
	global_load_b128 v[251:254], v[16:17], off offset:256
	global_load_b128 v[111:114], v[16:17], off offset:384
	s_waitcnt vmcnt(3)
	v_pk_fma_f16 v129, v247, v133, v129 op_sel_hi:[1,0,1]
	v_pk_fma_f16 v130, v248, v133, v130 op_sel_hi:[1,0,1]
	v_pk_fma_f16 v131, v249, v133, v131 op_sel_hi:[1,0,1]
	v_pk_fma_f16 v132, v250, v133, v132 op_sel_hi:[1,0,1]
	s_waitcnt vmcnt(1)
	v_pk_fma_f16 v235, v251, v98, v235 op_sel_hi:[1,0,1]
	v_pk_fma_f16 v236, v252, v98, v236 op_sel_hi:[1,0,1]
	v_pk_fma_f16 v237, v253, v98, v237 op_sel_hi:[1,0,1]
	v_pk_fma_f16 v238, v254, v98, v238 op_sel_hi:[1,0,1]
	s_clause 0x1
	scratch_store_b128 off, v[129:132], off offset:48
	scratch_store_b128 off, v[235:238], off offset:32
	s_clause 0x1
	scratch_load_b128 v[129:132], off, off offset:48
	scratch_load_b128 v[235:238], off, off offset:32
	s_clause 0x1
	global_load_b128 v[115:118], v[94:95], off offset:256
	global_load_b128 v[119:122], v[94:95], off offset:384
	s_waitcnt vmcnt(3)
	v_pk_fma_f16 v129, v111, v98, v129 op_sel_hi:[1,0,1]
	v_pk_fma_f16 v130, v112, v98, v130 op_sel_hi:[1,0,1]
	v_pk_fma_f16 v131, v113, v98, v131 op_sel_hi:[1,0,1]
	v_pk_fma_f16 v132, v114, v98, v132 op_sel_hi:[1,0,1]
	;; [unrolled: 19-line block ×3, first 2 shown]
	s_waitcnt vmcnt(1)
	v_pk_fma_f16 v235, v107, v100, v235 op_sel_hi:[1,0,1]
	v_pk_fma_f16 v236, v108, v100, v236 op_sel_hi:[1,0,1]
	;; [unrolled: 1-line block ×4, first 2 shown]
	s_clause 0x1
	scratch_store_b128 off, v[129:132], off offset:48
	scratch_store_b128 off, v[235:238], off offset:32
	s_clause 0x1
	scratch_load_b128 v[129:132], off, off offset:48
	scratch_load_b128 v[235:238], off, off offset:32
	s_waitcnt vmcnt(1)
	v_pk_fma_f16 v129, v94, v100, v129 op_sel_hi:[1,0,1]
	v_pk_fma_f16 v130, v95, v100, v130 op_sel_hi:[1,0,1]
	;; [unrolled: 1-line block ×4, first 2 shown]
	s_clause 0x1
	global_load_b128 v[98:101], v[22:23], off offset:256
	global_load_b128 v[14:17], v[22:23], off offset:384
	scratch_store_b128 off, v[129:132], off offset:48
	scratch_load_b128 v[129:132], off, off offset:48
	s_waitcnt vmcnt(2)
	v_pk_fma_f16 v235, v98, v6, v235 op_sel_hi:[1,0,1]
	v_pk_fma_f16 v236, v99, v6, v236 op_sel_hi:[1,0,1]
	;; [unrolled: 1-line block ×4, first 2 shown]
	s_waitcnt vmcnt(0)
	v_pk_fma_f16 v129, v14, v6, v129 op_sel_hi:[1,0,1]
	v_pk_fma_f16 v130, v15, v6, v130 op_sel_hi:[1,0,1]
	;; [unrolled: 1-line block ×4, first 2 shown]
	ds_load_u16 v6, v91 offset:256
	ds_load_u16 v22, v93 offset:16
	;; [unrolled: 1-line block ×7, first 2 shown]
	scratch_load_b128 v[0:3], off, off offset:64
	scratch_store_b128 off, v[150:153], off offset:92
	s_waitcnt lgkmcnt(6)
	v_pk_mul_f16 v4, v134, v6 op_sel_hi:[1,0]
	v_pk_mul_f16 v5, v135, v6 op_sel_hi:[1,0]
	;; [unrolled: 1-line block ×5, first 2 shown]
	s_delay_alu instid0(VALU_DEP_2) | instskip(NEXT) | instid1(VALU_DEP_4)
	v_pk_fma_f16 v142, v143, v6, v134 op_sel_hi:[1,0,1]
	v_pk_fma_f16 v143, v144, v6, v135 op_sel_hi:[1,0,1]
	s_waitcnt vmcnt(0)
	v_pk_fma_f16 v0, v18, v0, v4 op_sel_hi:[0,1,1]
	v_pk_mul_f16 v4, v136, v6 op_sel_hi:[1,0]
	v_pk_mul_f16 v136, v18, v149 op_sel_hi:[0,1]
	scratch_load_b128 v[148:151], off, off offset:112
	v_pk_mul_f16 v133, v18, v3 op_sel_hi:[0,1]
	v_pk_fma_f16 v1, v18, v1, v5 op_sel_hi:[0,1,1]
	v_pk_fma_f16 v2, v18, v2, v4 op_sel_hi:[0,1,1]
	s_delay_alu instid0(VALU_DEP_3)
	v_pk_fma_f16 v3, v137, v6, v133 op_sel_hi:[1,0,1]
	s_waitcnt vmcnt(0)
	v_pk_mul_f16 v148, v18, v148 op_sel_hi:[0,1]
	v_pk_mul_f16 v149, v18, v149 op_sel_hi:[0,1]
	;; [unrolled: 1-line block ×4, first 2 shown]
	s_clause 0x2
	scratch_store_b128 off, v[133:136], off offset:76
	scratch_store_b128 off, v[147:150], off offset:108
	scratch_store_b128 off, v[0:3], off offset:64
	s_clause 0x1
	scratch_load_b128 v[0:3], off, off offset:88
	scratch_load_b128 v[133:136], off, off offset:104
	s_waitcnt vmcnt(1)
	v_pk_fma_f16 v144, v145, v6, v0 op_sel_hi:[1,0,1]
	v_pk_fma_f16 v145, v146, v6, v1 op_sel_hi:[1,0,1]
	;; [unrolled: 1-line block ×4, first 2 shown]
	s_waitcnt vmcnt(0)
	v_pk_fma_f16 v2, v140, v6, v133 op_sel_hi:[1,0,1]
	v_pk_fma_f16 v3, v141, v6, v134 op_sel_hi:[1,0,1]
	;; [unrolled: 1-line block ×4, first 2 shown]
	scratch_store_b128 off, v[142:145], off offset:80
	ds_load_u16 v145, v93 offset:8
	s_clause 0x1
	scratch_load_b128 v[137:140], off, off offset:64
	scratch_load_b128 v[141:144], off, off offset:80
	scratch_store_b32 off, v4, off offset:124
	scratch_load_b64 v[4:5], off, off offset:120
	s_waitcnt vmcnt(2) lgkmcnt(0)
	v_pk_fma_f16 v137, v159, v145, v137 op_sel_hi:[1,0,1]
	v_pk_fma_f16 v138, v160, v145, v138 op_sel_hi:[1,0,1]
	;; [unrolled: 1-line block ×4, first 2 shown]
	s_waitcnt vmcnt(1)
	v_pk_fma_f16 v141, v163, v145, v141 op_sel_hi:[1,0,1]
	v_pk_fma_f16 v142, v164, v145, v142 op_sel_hi:[1,0,1]
	;; [unrolled: 1-line block ×4, first 2 shown]
	s_waitcnt vmcnt(0)
	v_pk_fma_f16 v135, v225, v6, v4 op_sel_hi:[1,0,1]
	v_pk_fma_f16 v136, v226, v6, v5 op_sel_hi:[1,0,1]
	s_clause 0x1
	scratch_store_b128 off, v[0:3], off offset:96
	scratch_store_b128 off, v[133:136], off offset:112
	s_clause 0x1
	scratch_load_b128 v[0:3], off, off offset:96
	scratch_load_b128 v[133:136], off, off offset:112
	s_clause 0x1
	scratch_store_b128 off, v[137:140], off offset:64
	scratch_store_b128 off, v[141:144], off offset:80
	s_clause 0x1
	scratch_load_b128 v[137:140], off, off offset:64
	scratch_load_b128 v[141:144], off, off offset:80
	s_waitcnt vmcnt(3)
	v_pk_fma_f16 v0, v227, v145, v0 op_sel_hi:[1,0,1]
	v_pk_fma_f16 v1, v228, v145, v1 op_sel_hi:[1,0,1]
	v_pk_fma_f16 v2, v229, v145, v2 op_sel_hi:[1,0,1]
	v_pk_fma_f16 v3, v230, v145, v3 op_sel_hi:[1,0,1]
	s_waitcnt vmcnt(2)
	v_pk_fma_f16 v133, v231, v145, v133 op_sel_hi:[1,0,1]
	v_pk_fma_f16 v134, v232, v145, v134 op_sel_hi:[1,0,1]
	v_pk_fma_f16 v135, v233, v145, v135 op_sel_hi:[1,0,1]
	v_pk_fma_f16 v136, v234, v145, v136 op_sel_hi:[1,0,1]
	s_waitcnt vmcnt(1)
	v_pk_fma_f16 v137, v167, v22, v137 op_sel_hi:[1,0,1]
	v_pk_fma_f16 v138, v168, v22, v138 op_sel_hi:[1,0,1]
	v_pk_fma_f16 v139, v169, v22, v139 op_sel_hi:[1,0,1]
	v_pk_fma_f16 v140, v170, v22, v140 op_sel_hi:[1,0,1]
	s_waitcnt vmcnt(0)
	v_pk_fma_f16 v141, v171, v22, v141 op_sel_hi:[1,0,1]
	v_pk_fma_f16 v142, v172, v22, v142 op_sel_hi:[1,0,1]
	v_pk_fma_f16 v143, v173, v22, v143 op_sel_hi:[1,0,1]
	v_pk_fma_f16 v144, v174, v22, v144 op_sel_hi:[1,0,1]
	s_clause 0x1
	scratch_store_b128 off, v[0:3], off offset:96
	scratch_store_b128 off, v[133:136], off offset:112
	s_clause 0x1
	scratch_load_b128 v[0:3], off, off offset:96
	scratch_load_b128 v[133:136], off, off offset:112
	s_clause 0x1
	scratch_store_b128 off, v[137:140], off offset:64
	scratch_store_b128 off, v[141:144], off offset:80
	s_clause 0x1
	scratch_load_b128 v[137:140], off, off offset:64
	scratch_load_b128 v[141:144], off, off offset:80
	s_waitcnt vmcnt(3)
	v_pk_fma_f16 v0, v239, v22, v0 op_sel_hi:[1,0,1]
	v_pk_fma_f16 v1, v240, v22, v1 op_sel_hi:[1,0,1]
	v_pk_fma_f16 v2, v241, v22, v2 op_sel_hi:[1,0,1]
	v_pk_fma_f16 v3, v242, v22, v3 op_sel_hi:[1,0,1]
	s_waitcnt vmcnt(2)
	v_pk_fma_f16 v133, v243, v22, v133 op_sel_hi:[1,0,1]
	v_pk_fma_f16 v134, v244, v22, v134 op_sel_hi:[1,0,1]
	v_pk_fma_f16 v135, v245, v22, v135 op_sel_hi:[1,0,1]
	v_pk_fma_f16 v136, v246, v22, v136 op_sel_hi:[1,0,1]
	s_waitcnt vmcnt(1)
	v_pk_fma_f16 v137, v175, v23, v137 op_sel_hi:[1,0,1]
	v_pk_fma_f16 v138, v176, v23, v138 op_sel_hi:[1,0,1]
	v_pk_fma_f16 v139, v177, v23, v139 op_sel_hi:[1,0,1]
	v_pk_fma_f16 v140, v178, v23, v140 op_sel_hi:[1,0,1]
	s_waitcnt vmcnt(0)
	v_pk_fma_f16 v141, v179, v23, v141 op_sel_hi:[1,0,1]
	v_pk_fma_f16 v142, v180, v23, v142 op_sel_hi:[1,0,1]
	;; [unrolled: 32-line block ×3, first 2 shown]
	v_pk_fma_f16 v143, v189, v92, v143 op_sel_hi:[1,0,1]
	v_pk_fma_f16 v144, v190, v92, v144 op_sel_hi:[1,0,1]
	s_clause 0x1
	scratch_store_b128 off, v[0:3], off offset:96
	scratch_store_b128 off, v[133:136], off offset:112
	s_clause 0x1
	scratch_load_b128 v[0:3], off, off offset:96
	scratch_load_b128 v[133:136], off, off offset:112
	s_clause 0x1
	scratch_store_b128 off, v[137:140], off offset:64
	scratch_store_b128 off, v[141:144], off offset:80
	s_waitcnt vmcnt(1)
	v_pk_fma_f16 v0, v251, v92, v0 op_sel_hi:[1,0,1]
	v_pk_fma_f16 v1, v252, v92, v1 op_sel_hi:[1,0,1]
	;; [unrolled: 1-line block ×4, first 2 shown]
	s_waitcnt vmcnt(0)
	v_pk_fma_f16 v111, v111, v92, v133 op_sel_hi:[1,0,1]
	v_pk_fma_f16 v112, v112, v92, v134 op_sel_hi:[1,0,1]
	;; [unrolled: 1-line block ×4, first 2 shown]
	s_clause 0x1
	scratch_load_b128 v[133:136], off, off offset:64
	scratch_load_b128 v[137:140], off, off offset:80
	s_clause 0x1
	scratch_store_b128 off, v[0:3], off offset:96
	scratch_store_b128 off, v[111:114], off offset:112
	s_clause 0x1
	scratch_load_b128 v[0:3], off, off offset:96
	scratch_load_b128 v[111:114], off, off offset:112
	s_waitcnt vmcnt(3)
	v_pk_fma_f16 v133, v191, v104, v133 op_sel_hi:[1,0,1]
	v_pk_fma_f16 v134, v192, v104, v134 op_sel_hi:[1,0,1]
	v_pk_fma_f16 v135, v193, v104, v135 op_sel_hi:[1,0,1]
	v_pk_fma_f16 v136, v194, v104, v136 op_sel_hi:[1,0,1]
	s_waitcnt vmcnt(2)
	v_pk_fma_f16 v137, v195, v104, v137 op_sel_hi:[1,0,1]
	v_pk_fma_f16 v138, v196, v104, v138 op_sel_hi:[1,0,1]
	v_pk_fma_f16 v139, v197, v104, v139 op_sel_hi:[1,0,1]
	v_pk_fma_f16 v140, v198, v104, v140 op_sel_hi:[1,0,1]
	;; [unrolled: 5-line block ×3, first 2 shown]
	s_clause 0x1
	scratch_store_b128 off, v[133:136], off offset:64
	scratch_store_b128 off, v[137:140], off offset:80
	s_waitcnt vmcnt(0)
	v_pk_fma_f16 v111, v119, v104, v111 op_sel_hi:[1,0,1]
	v_pk_fma_f16 v112, v120, v104, v112 op_sel_hi:[1,0,1]
	;; [unrolled: 1-line block ×4, first 2 shown]
	s_clause 0x1
	scratch_load_b128 v[115:118], off, off offset:64
	scratch_load_b128 v[119:122], off, off offset:80
	s_clause 0x1
	scratch_store_b128 off, v[0:3], off offset:96
	scratch_store_b128 off, v[111:114], off offset:112
	s_clause 0x1
	scratch_load_b128 v[0:3], off, off offset:96
	scratch_load_b128 v[111:114], off, off offset:112
	s_waitcnt vmcnt(3)
	v_pk_fma_f16 v115, v199, v255, v115 op_sel_hi:[1,0,1]
	v_pk_fma_f16 v116, v200, v255, v116 op_sel_hi:[1,0,1]
	v_pk_fma_f16 v117, v201, v255, v117 op_sel_hi:[1,0,1]
	v_pk_fma_f16 v118, v202, v255, v118 op_sel_hi:[1,0,1]
	s_waitcnt vmcnt(2)
	v_pk_fma_f16 v119, v203, v255, v119 op_sel_hi:[1,0,1]
	v_pk_fma_f16 v120, v204, v255, v120 op_sel_hi:[1,0,1]
	v_pk_fma_f16 v121, v205, v255, v121 op_sel_hi:[1,0,1]
	v_pk_fma_f16 v122, v206, v255, v122 op_sel_hi:[1,0,1]
	;; [unrolled: 5-line block ×3, first 2 shown]
	s_clause 0x1
	scratch_store_b128 off, v[115:118], off offset:64
	scratch_store_b128 off, v[119:122], off offset:80
	s_waitcnt vmcnt(0)
	v_pk_fma_f16 v94, v94, v255, v111 op_sel_hi:[1,0,1]
	v_pk_fma_f16 v95, v95, v255, v112 op_sel_hi:[1,0,1]
	;; [unrolled: 1-line block ×4, first 2 shown]
	s_clause 0x1
	scratch_load_b128 v[107:110], off, off offset:64
	scratch_load_b128 v[111:114], off, off offset:80
	s_clause 0x1
	scratch_store_b128 off, v[0:3], off offset:96
	scratch_store_b128 off, v[94:97], off offset:112
	s_clause 0x1
	scratch_load_b128 v[0:3], off, off offset:96
	scratch_load_b128 v[94:97], off, off offset:112
	s_clause 0x3
	scratch_store_b128 off, v[155:158], off
	scratch_store_b128 off, v[215:218], off offset:16
	scratch_store_b128 off, v[235:238], off offset:32
	;; [unrolled: 1-line block ×3, first 2 shown]
	s_waitcnt vmcnt(3)
	v_pk_fma_f16 v107, v207, v88, v107 op_sel_hi:[1,0,1]
	v_pk_fma_f16 v108, v208, v88, v108 op_sel_hi:[1,0,1]
	v_pk_fma_f16 v109, v209, v88, v109 op_sel_hi:[1,0,1]
	v_pk_fma_f16 v110, v210, v88, v110 op_sel_hi:[1,0,1]
	s_waitcnt vmcnt(2)
	v_pk_fma_f16 v111, v211, v88, v111 op_sel_hi:[1,0,1]
	v_pk_fma_f16 v112, v212, v88, v112 op_sel_hi:[1,0,1]
	v_pk_fma_f16 v113, v213, v88, v113 op_sel_hi:[1,0,1]
	v_pk_fma_f16 v114, v214, v88, v114 op_sel_hi:[1,0,1]
	s_waitcnt vmcnt(1)
	v_pk_fma_f16 v0, v98, v88, v0 op_sel_hi:[1,0,1]
	v_pk_fma_f16 v1, v99, v88, v1 op_sel_hi:[1,0,1]
	v_pk_fma_f16 v2, v100, v88, v2 op_sel_hi:[1,0,1]
	v_pk_fma_f16 v3, v101, v88, v3 op_sel_hi:[1,0,1]
	s_waitcnt vmcnt(0)
	v_pk_fma_f16 v14, v14, v88, v94 op_sel_hi:[1,0,1]
	v_pk_fma_f16 v15, v15, v88, v95 op_sel_hi:[1,0,1]
	v_pk_fma_f16 v16, v16, v88, v96 op_sel_hi:[1,0,1]
	v_pk_fma_f16 v17, v17, v88, v97 op_sel_hi:[1,0,1]
	s_clause 0x3
	scratch_store_b128 off, v[107:110], off offset:64
	scratch_store_b128 off, v[111:114], off offset:80
	;; [unrolled: 1-line block ×4, first 2 shown]
	s_cbranch_scc1 .LBB31_120
; %bb.119:                              ;   in Loop: Header=BB31_22 Depth=1
	v_dual_mov_b32 v4, v12 :: v_dual_mov_b32 v127, v13
	s_branch .LBB31_22
.LBB31_120:
	s_clause 0x5
	scratch_load_b32 v78, off, off offset:240
	scratch_load_b32 v79, off, off offset:244
	;; [unrolled: 1-line block ×6, first 2 shown]
	v_mbcnt_lo_u32_b32 v91, -1, 0
.LBB31_121:
	s_cmp_lg_u64 s[24:25], 0
	s_waitcnt vmcnt(2)
	v_cmp_gt_u32_e32 vcc_lo, 2, v81
	s_cselect_b32 s2, -1, 0
	s_cmp_eq_u32 s14, 0
	s_cselect_b32 s3, -1, 0
	s_delay_alu instid0(SALU_CYCLE_1) | instskip(NEXT) | instid1(SALU_CYCLE_1)
	s_and_b32 s2, s3, s2
	s_and_b32 s2, vcc_lo, s2
	s_delay_alu instid0(SALU_CYCLE_1)
	s_and_saveexec_b32 s3, s2
	s_cbranch_execz .LBB31_123
; %bb.122:
	v_cmp_eq_u32_e32 vcc_lo, 1, v81
	s_ashr_i32 s13, s12, 31
	s_delay_alu instid0(SALU_CYCLE_1) | instskip(NEXT) | instid1(SALU_CYCLE_1)
	s_lshl_b64 s[4:5], s[12:13], 2
	s_add_u32 s4, s24, s4
	v_cndmask_b32_e32 v9, v12, v13, vcc_lo
	s_waitcnt vmcnt(0)
	v_lshlrev_b32_e32 v8, 6, v81
	s_addc_u32 s5, s25, s5
	s_clause 0x3
	scratch_load_b128 v[0:3], v8, off
	scratch_load_b128 v[4:7], v8, off offset:16
	scratch_load_b128 v[14:17], v8, off offset:32
	;; [unrolled: 1-line block ×3, first 2 shown]
	s_load_b32 s2, s[4:5], 0x0
	v_max_f32_e32 v18, v9, v9
	s_waitcnt lgkmcnt(0)
	v_max_f32_e64 v24, s2, s2
	s_delay_alu instid0(VALU_DEP_1) | instskip(NEXT) | instid1(VALU_DEP_1)
	v_max_f32_e32 v18, v24, v18
	v_sub_f32_e32 v24, s2, v18
	s_delay_alu instid0(VALU_DEP_1) | instskip(SKIP_1) | instid1(VALU_DEP_2)
	v_mul_f32_e32 v25, 0x3fb8aa3b, v24
	v_cmp_ngt_f32_e64 s2, 0xc2ce8ed0, v24
	v_fma_f32 v27, 0x3fb8aa3b, v24, -v25
	v_rndne_f32_e32 v28, v25
	s_delay_alu instid0(VALU_DEP_2) | instskip(SKIP_1) | instid1(VALU_DEP_3)
	v_fmac_f32_e32 v27, 0x32a5705f, v24
	v_sub_f32_e32 v9, v9, v18
	v_sub_f32_e32 v25, v25, v28
	s_delay_alu instid0(VALU_DEP_2) | instskip(NEXT) | instid1(VALU_DEP_1)
	v_dual_cndmask_b32 v13, v13, v18 :: v_dual_mul_f32 v26, 0x3fb8aa3b, v9
	v_fma_f32 v29, 0x3fb8aa3b, v9, -v26
	v_rndne_f32_e32 v30, v26
	s_delay_alu instid0(VALU_DEP_1) | instskip(SKIP_3) | instid1(VALU_DEP_4)
	v_dual_fmac_f32 v29, 0x32a5705f, v9 :: v_dual_sub_f32 v26, v26, v30
	v_add_f32_e32 v25, v25, v27
	v_cvt_i32_f32_e32 v27, v28
	v_cvt_i32_f32_e32 v28, v30
	v_add_f32_e32 v26, v26, v29
	s_delay_alu instid0(VALU_DEP_4) | instskip(NEXT) | instid1(VALU_DEP_1)
	v_exp_f32_e32 v25, v25
	v_exp_f32_e32 v26, v26
	s_waitcnt_depctr 0xfff
	v_ldexp_f32 v25, v25, v27
	v_ldexp_f32 v26, v26, v28
	s_delay_alu instid0(VALU_DEP_2) | instskip(SKIP_1) | instid1(VALU_DEP_1)
	v_cndmask_b32_e64 v25, 0, v25, s2
	v_cmp_ngt_f32_e64 s2, 0xc2ce8ed0, v9
	v_cndmask_b32_e64 v26, 0, v26, s2
	v_cmp_nlt_f32_e64 s2, 0x42b17218, v24
	s_delay_alu instid0(VALU_DEP_1) | instskip(SKIP_2) | instid1(VALU_DEP_2)
	v_cndmask_b32_e64 v24, 0x7f800000, v25, s2
	v_cmp_nlt_f32_e64 s2, 0x42b17218, v9
	v_cndmask_b32_e32 v25, v10, v11, vcc_lo
	v_cndmask_b32_e64 v9, 0x7f800000, v26, s2
	v_cmp_eq_u32_e64 s2, 0, v78
	s_delay_alu instid0(VALU_DEP_1) | instskip(SKIP_1) | instid1(VALU_DEP_2)
	v_cndmask_b32_e64 v24, 0, v24, s2
	v_cmp_eq_u32_e64 s2, 0, v81
	v_fmac_f32_e32 v24, v25, v9
	v_cvt_f16_f32_e32 v9, v9
	s_delay_alu instid0(VALU_DEP_3) | instskip(NEXT) | instid1(VALU_DEP_3)
	v_cndmask_b32_e64 v12, v12, v18, s2
	v_cndmask_b32_e32 v11, v11, v24, vcc_lo
	v_cndmask_b32_e64 v10, v10, v24, s2
	s_waitcnt vmcnt(3)
	v_pk_mul_f16 v0, v9, v0 op_sel_hi:[0,1]
	v_pk_mul_f16 v1, v9, v1 op_sel_hi:[0,1]
	v_pk_mul_f16 v2, v9, v2 op_sel_hi:[0,1]
	v_pk_mul_f16 v3, v9, v3 op_sel_hi:[0,1]
	s_waitcnt vmcnt(2)
	v_pk_mul_f16 v4, v9, v4 op_sel_hi:[0,1]
	v_pk_mul_f16 v5, v9, v5 op_sel_hi:[0,1]
	v_pk_mul_f16 v6, v9, v6 op_sel_hi:[0,1]
	v_pk_mul_f16 v7, v9, v7 op_sel_hi:[0,1]
	s_waitcnt vmcnt(1)
	v_pk_mul_f16 v14, v9, v14 op_sel_hi:[0,1]
	v_pk_mul_f16 v15, v9, v15 op_sel_hi:[0,1]
	v_pk_mul_f16 v16, v9, v16 op_sel_hi:[0,1]
	v_pk_mul_f16 v17, v9, v17 op_sel_hi:[0,1]
	s_waitcnt vmcnt(0)
	v_pk_mul_f16 v20, v9, v20 op_sel_hi:[0,1]
	v_pk_mul_f16 v21, v9, v21 op_sel_hi:[0,1]
	v_pk_mul_f16 v22, v9, v22 op_sel_hi:[0,1]
	v_pk_mul_f16 v23, v9, v23 op_sel_hi:[0,1]
	s_clause 0x3
	scratch_store_b128 v8, v[0:3], off
	scratch_store_b128 v8, v[4:7], off offset:16
	scratch_store_b128 v8, v[14:17], off offset:32
	;; [unrolled: 1-line block ×3, first 2 shown]
.LBB31_123:
	s_or_b32 exec_lo, exec_lo, s3
	s_delay_alu instid0(SALU_CYCLE_1)
	s_mov_b32 s2, exec_lo
	v_cmpx_eq_u32_e32 0, v81
	s_cbranch_execz .LBB31_125
; %bb.124:
	v_mov_b32_e32 v0, 0xfeffffff
	s_waitcnt vmcnt(1)
	v_dual_mov_b32 v2, 0 :: v_dual_add_nc_u32 v1, 0x2000, v79
	ds_store_2addr_b32 v1, v0, v0 offset1:32
	ds_store_2addr_b32 v1, v2, v2 offset0:64 offset1:96
.LBB31_125:
	s_or_b32 exec_lo, exec_lo, s2
	v_cmp_eq_u32_e64 s2, 0, v78
	s_waitcnt vmcnt(0) lgkmcnt(0)
	s_waitcnt_vscnt null, 0x0
	s_barrier
	buffer_gl0_inv
	s_and_saveexec_b32 s3, s2
	s_cbranch_execz .LBB31_127
; %bb.126:
	v_lshlrev_b32_e32 v0, 2, v81
	s_delay_alu instid0(VALU_DEP_1)
	v_add_nc_u32_e32 v0, 0x2000, v0
	ds_store_2addr_b32 v0, v12, v13 offset1:32
.LBB31_127:
	s_or_b32 exec_lo, exec_lo, s3
	s_delay_alu instid0(SALU_CYCLE_1)
	s_and_not1_b32 vcc_lo, exec_lo, s36
	s_waitcnt lgkmcnt(0)
	s_barrier
	buffer_gl0_inv
	s_cbranch_vccnz .LBB31_129
; %bb.128:
	s_add_u32 s4, s0, 0xd0
	s_addc_u32 s5, s1, 0
	s_cbranch_execz .LBB31_130
	s_branch .LBB31_137
.LBB31_129:
                                        ; implicit-def: $sgpr4_sgpr5
.LBB31_130:
	ds_load_b32 v0, v79 offset:8192
	v_xor_b32_e32 v1, 16, v91
	s_clause 0x3
	scratch_load_b128 v[14:17], off, off
	scratch_load_b128 v[20:23], off, off offset:16
	scratch_load_b128 v[24:27], off, off offset:32
	;; [unrolled: 1-line block ×3, first 2 shown]
	v_xor_b32_e32 v2, 8, v91
	v_cmp_gt_i32_e32 vcc_lo, 32, v1
	s_load_b32 s3, s[0:1], 0xd4
	s_add_u32 s4, s0, 0xd0
	s_addc_u32 s5, s1, 0
	v_cndmask_b32_e32 v1, v91, v1, vcc_lo
	v_cmp_gt_i32_e32 vcc_lo, 32, v2
	s_delay_alu instid0(VALU_DEP_2)
	v_lshlrev_b32_e32 v6, 2, v1
	s_waitcnt lgkmcnt(0)
	ds_bpermute_b32 v1, v6, v0
	v_cndmask_b32_e32 v2, v91, v2, vcc_lo
	s_waitcnt lgkmcnt(0)
	v_dual_max_f32 v0, v0, v0 :: v_dual_max_f32 v1, v1, v1
	s_delay_alu instid0(VALU_DEP_2) | instskip(SKIP_1) | instid1(VALU_DEP_3)
	v_lshlrev_b32_e32 v5, 2, v2
	v_xor_b32_e32 v2, 4, v91
	v_max_f32_e32 v0, v0, v1
	s_delay_alu instid0(VALU_DEP_2) | instskip(SKIP_3) | instid1(VALU_DEP_1)
	v_cmp_gt_i32_e32 vcc_lo, 32, v2
	ds_bpermute_b32 v1, v5, v0
	s_waitcnt lgkmcnt(0)
	v_dual_cndmask_b32 v2, v91, v2 :: v_dual_max_f32 v1, v1, v1
	v_lshlrev_b32_e32 v4, 2, v2
	v_xor_b32_e32 v2, 2, v91
	s_delay_alu instid0(VALU_DEP_1) | instskip(SKIP_1) | instid1(VALU_DEP_1)
	v_cmp_gt_i32_e32 vcc_lo, 32, v2
	v_cndmask_b32_e32 v2, v91, v2, vcc_lo
	v_dual_max_f32 v0, v0, v1 :: v_dual_lshlrev_b32 v3, 2, v2
	ds_bpermute_b32 v1, v4, v0
	v_xor_b32_e32 v2, 1, v91
	s_delay_alu instid0(VALU_DEP_1) | instskip(SKIP_2) | instid1(VALU_DEP_1)
	v_cmp_gt_i32_e32 vcc_lo, 32, v2
	v_cndmask_b32_e32 v2, v91, v2, vcc_lo
	s_waitcnt lgkmcnt(0)
	v_dual_max_f32 v1, v1, v1 :: v_dual_lshlrev_b32 v2, 2, v2
	s_delay_alu instid0(VALU_DEP_1) | instskip(SKIP_3) | instid1(VALU_DEP_1)
	v_max_f32_e32 v0, v0, v1
	ds_bpermute_b32 v1, v3, v0
	s_waitcnt lgkmcnt(0)
	v_max_f32_e32 v1, v1, v1
	v_max_f32_e32 v0, v0, v1
	ds_bpermute_b32 v1, v2, v0
	s_waitcnt lgkmcnt(0)
	v_max_f32_e32 v1, v1, v1
	s_delay_alu instid0(VALU_DEP_1) | instskip(NEXT) | instid1(VALU_DEP_1)
	v_max_f32_e32 v0, v0, v1
	v_sub_f32_e32 v1, v12, v0
	s_delay_alu instid0(VALU_DEP_1) | instskip(SKIP_1) | instid1(VALU_DEP_2)
	v_mul_f32_e32 v7, 0x3fb8aa3b, v1
	v_cmp_ngt_f32_e32 vcc_lo, 0xc2ce8ed0, v1
	v_fma_f32 v8, 0x3fb8aa3b, v1, -v7
	v_rndne_f32_e32 v9, v7
	s_delay_alu instid0(VALU_DEP_1) | instskip(NEXT) | instid1(VALU_DEP_1)
	v_dual_fmamk_f32 v8, v1, 0x32a5705f, v8 :: v_dual_sub_f32 v7, v7, v9
	v_add_f32_e32 v7, v7, v8
	v_cvt_i32_f32_e32 v8, v9
	v_lshlrev_b32_e32 v9, 6, v78
	s_delay_alu instid0(VALU_DEP_3) | instskip(NEXT) | instid1(VALU_DEP_1)
	v_exp_f32_e32 v7, v7
	v_and_b32_e32 v9, 0x1e00, v9
	s_delay_alu instid0(VALU_DEP_1) | instskip(SKIP_2) | instid1(VALU_DEP_1)
	v_lshl_add_u32 v9, v81, 11, v9
	s_waitcnt_depctr 0xfff
	v_ldexp_f32 v7, v7, v8
	v_cndmask_b32_e32 v7, 0, v7, vcc_lo
	v_cmp_nlt_f32_e32 vcc_lo, 0x42b17218, v1
	s_delay_alu instid0(VALU_DEP_2) | instskip(NEXT) | instid1(VALU_DEP_1)
	v_cndmask_b32_e32 v1, 0x7f800000, v7, vcc_lo
	v_mul_f32_e32 v7, v10, v1
	ds_bpermute_b32 v7, v6, v7
	s_waitcnt lgkmcnt(0)
	v_fmac_f32_e32 v7, v10, v1
	v_cvt_f16_f32_e32 v10, v1
	ds_bpermute_b32 v8, v5, v7
	s_waitcnt lgkmcnt(0)
	v_add_f32_e32 v7, v7, v8
	ds_bpermute_b32 v8, v4, v7
	s_waitcnt lgkmcnt(0)
	v_add_f32_e32 v7, v7, v8
	ds_bpermute_b32 v8, v3, v7
	s_waitcnt vmcnt(2)
	v_pk_mul_f16 v20, v10, v20 op_sel_hi:[0,1]
	v_pk_mul_f16 v14, v10, v14 op_sel_hi:[0,1]
	;; [unrolled: 1-line block ×8, first 2 shown]
	s_waitcnt vmcnt(1)
	v_pk_mul_f16 v24, v10, v24 op_sel_hi:[0,1]
	s_waitcnt lgkmcnt(0)
	v_add_f32_e32 v1, v7, v8
	v_lshl_or_b32 v7, v88, 2, v9
	v_pk_mul_f16 v25, v10, v25 op_sel_hi:[0,1]
	v_pk_mul_f16 v26, v10, v26 op_sel_hi:[0,1]
	;; [unrolled: 1-line block ×3, first 2 shown]
	ds_bpermute_b32 v8, v2, v1
	s_waitcnt vmcnt(0)
	v_pk_mul_f16 v28, v10, v28 op_sel_hi:[0,1]
	v_pk_mul_f16 v29, v10, v29 op_sel_hi:[0,1]
	;; [unrolled: 1-line block ×4, first 2 shown]
	s_clause 0x3
	scratch_store_b128 off, v[14:17], off
	scratch_store_b128 off, v[20:23], off offset:16
	scratch_store_b128 off, v[24:27], off offset:32
	;; [unrolled: 1-line block ×3, first 2 shown]
	ds_store_b128 v7, v[14:17]
	ds_store_b128 v7, v[20:23] offset:128
	ds_store_b128 v7, v[24:27] offset:256
	;; [unrolled: 1-line block ×3, first 2 shown]
	s_and_saveexec_b32 s0, s2
	s_cbranch_execz .LBB31_132
; %bb.131:
	s_waitcnt lgkmcnt(4)
	v_dual_add_f32 v1, v1, v8 :: v_dual_lshlrev_b32 v8, 2, v81
	ds_store_b32 v8, v1 offset:8448
.LBB31_132:
	s_or_b32 exec_lo, exec_lo, s0
	s_waitcnt lgkmcnt(0)
	s_waitcnt_vscnt null, 0x0
	s_barrier
	buffer_gl0_inv
	ds_load_b32 v1, v79 offset:8448
	ds_load_u16 v8, v19
	ds_load_u16 v9, v19 offset:1280
	ds_load_u16 v10, v19 offset:768
	;; [unrolled: 1-line block ×3, first 2 shown]
	s_cmp_eq_u32 s3, 1
	s_mul_i32 s6, s33, s34
	s_cselect_b32 s0, -1, 0
	s_add_i32 s6, s6, s15
	s_delay_alu instid0(SALU_CYCLE_1) | instskip(NEXT) | instid1(SALU_CYCLE_1)
	s_mul_i32 s6, s6, s35
	s_add_i32 s6, s6, s12
	s_delay_alu instid0(SALU_CYCLE_1) | instskip(NEXT) | instid1(SALU_CYCLE_1)
	s_mul_i32 s7, s3, s6
	s_add_i32 s7, s7, s14
	s_waitcnt lgkmcnt(4)
	ds_bpermute_b32 v14, v6, v1
	s_waitcnt lgkmcnt(4)
	v_cvt_f32_f16_e32 v8, v8
	s_waitcnt lgkmcnt(3)
	v_cvt_f32_f16_e32 v9, v9
	;; [unrolled: 2-line block ×4, first 2 shown]
	v_add_f32_e32 v8, 0, v8
	s_waitcnt lgkmcnt(0)
	s_delay_alu instid0(VALU_DEP_2)
	v_dual_add_f32 v12, 0, v12 :: v_dual_add_f32 v1, v1, v14
	ds_load_u16 v14, v19 offset:512
	ds_load_u16 v16, v19 offset:1024
	;; [unrolled: 1-line block ×16, first 2 shown]
	ds_bpermute_b32 v15, v5, v1
	s_waitcnt lgkmcnt(14)
	v_cvt_f32_f16_e32 v17, v17
	s_waitcnt lgkmcnt(13)
	v_cvt_f32_f16_e32 v18, v18
	;; [unrolled: 2-line block ×3, first 2 shown]
	v_cvt_f32_f16_e32 v14, v14
	s_waitcnt lgkmcnt(7)
	v_cvt_f32_f16_e32 v25, v25
	s_waitcnt lgkmcnt(0)
	s_delay_alu instid0(VALU_DEP_2)
	v_dual_add_f32 v1, v1, v15 :: v_dual_add_f32 v8, v8, v14
	v_cvt_f32_f16_e32 v15, v16
	ds_load_u16 v14, v19 offset:4608
	ds_load_u16 v16, v19 offset:4352
	ds_bpermute_b32 v32, v4, v1
	v_add_f32_e32 v8, v8, v15
	ds_load_u16 v15, v19 offset:4096
	ds_load_u16 v33, v19 offset:3840
	s_waitcnt lgkmcnt(2)
	v_dual_add_f32 v1, v1, v32 :: v_dual_add_f32 v10, v12, v10
	v_cvt_f32_f16_e32 v12, v23
	v_cvt_f32_f16_e32 v23, v27
	s_waitcnt lgkmcnt(1)
	v_cvt_f32_f16_e32 v15, v15
	v_add_f32_e32 v9, v10, v9
	v_add_f32_e32 v8, v8, v17
	v_cvt_f32_f16_e32 v10, v21
	v_cvt_f32_f16_e32 v21, v26
	ds_load_u16 v17, v19 offset:7680
	ds_load_u16 v34, v19 offset:7424
	v_dual_add_f32 v9, v9, v23 :: v_dual_add_f32 v8, v8, v18
	s_waitcnt lgkmcnt(2)
	v_cvt_f32_f16_e32 v23, v33
	ds_load_u16 v18, v19 offset:7168
	ds_load_u16 v35, v19 offset:6912
	v_add_f32_e32 v9, v9, v21
	v_add_f32_e32 v8, v8, v25
	ds_load_u16 v21, v19 offset:6656
	v_add_f32_e32 v8, v8, v12
	ds_bpermute_b32 v12, v3, v1
	v_add_f32_e32 v8, v8, v10
	v_cvt_f32_f16_e32 v10, v14
	v_cvt_f32_f16_e32 v14, v24
	s_waitcnt lgkmcnt(3)
	v_cvt_f32_f16_e32 v18, v18
	s_delay_alu instid0(VALU_DEP_2) | instskip(SKIP_1) | instid1(VALU_DEP_2)
	v_add_f32_e32 v9, v9, v14
	v_cvt_f32_f16_e32 v14, v30
	v_add_f32_e32 v9, v9, v22
	v_cvt_f32_f16_e32 v22, v28
	s_waitcnt lgkmcnt(0)
	v_add_f32_e32 v1, v1, v12
	s_delay_alu instid0(VALU_DEP_3)
	v_add_f32_e32 v9, v9, v23
	v_cvt_f32_f16_e32 v12, v16
	v_add_f32_e32 v8, v8, v15
	ds_load_u16 v15, v19 offset:6400
	ds_bpermute_b32 v16, v2, v1
	v_dual_add_f32 v9, v9, v12 :: v_dual_add_f32 v8, v8, v10
	ds_load_u16 v10, v19 offset:5888
	v_cvt_f32_f16_e32 v12, v21
	v_add_f32_e32 v8, v8, v14
	v_cvt_f32_f16_e32 v14, v20
	v_cvt_f32_f16_e32 v20, v31
	s_delay_alu instid0(VALU_DEP_1) | instskip(NEXT) | instid1(VALU_DEP_1)
	v_dual_add_f32 v8, v8, v22 :: v_dual_add_f32 v9, v9, v20
	v_add_f32_e32 v8, v8, v14
	v_cvt_f32_f16_e32 v14, v29
	s_waitcnt lgkmcnt(2)
	v_cvt_f32_f16_e32 v15, v15
	s_delay_alu instid0(VALU_DEP_2)
	v_dual_add_f32 v8, v8, v12 :: v_dual_add_f32 v9, v9, v14
	ds_load_u16 v12, v19 offset:7936
	s_waitcnt lgkmcnt(1)
	v_cvt_f32_f16_e32 v10, v10
	v_cvt_f32_f16_e32 v14, v17
	v_add_f32_e32 v8, v8, v18
	s_delay_alu instid0(VALU_DEP_3) | instskip(NEXT) | instid1(VALU_DEP_2)
	v_add_f32_e32 v9, v9, v10
	v_add_f32_e32 v14, v8, v14
	s_delay_alu instid0(VALU_DEP_2) | instskip(SKIP_3) | instid1(VALU_DEP_2)
	v_add_f32_e32 v8, v9, v15
	v_add_f32_e32 v10, v1, v16
	v_cvt_f32_f16_e32 v1, v35
	v_cvt_f32_f16_e32 v15, v34
	v_add_f32_e32 v1, v8, v1
	s_delay_alu instid0(VALU_DEP_4) | instskip(SKIP_3) | instid1(VALU_DEP_3)
	v_div_scale_f32 v9, null, v10, v10, v14
	s_waitcnt lgkmcnt(0)
	v_cvt_f32_f16_e32 v12, v12
	v_div_scale_f32 v16, vcc_lo, v14, v10, v14
	v_rcp_f32_e32 v8, v9
	v_add_f32_e32 v1, v1, v15
	s_delay_alu instid0(VALU_DEP_1) | instskip(SKIP_3) | instid1(VALU_DEP_2)
	v_add_f32_e32 v1, v1, v12
	s_waitcnt_depctr 0xfff
	v_fma_f32 v12, -v9, v8, 1.0
	v_div_scale_f32 v15, null, v10, v10, v1
	v_fmac_f32_e32 v8, v12, v8
	s_delay_alu instid0(VALU_DEP_2) | instskip(NEXT) | instid1(VALU_DEP_1)
	v_rcp_f32_e32 v12, v15
	v_mul_f32_e32 v17, v16, v8
	s_delay_alu instid0(VALU_DEP_1) | instskip(SKIP_4) | instid1(VALU_DEP_3)
	v_fma_f32 v18, -v9, v17, v16
	s_waitcnt_depctr 0xfff
	v_fma_f32 v20, -v15, v12, 1.0
	v_fmac_f32_e32 v17, v18, v8
	v_div_scale_f32 v18, s1, v1, v10, v1
	v_fmac_f32_e32 v12, v20, v12
	s_delay_alu instid0(VALU_DEP_3) | instskip(NEXT) | instid1(VALU_DEP_2)
	v_fma_f32 v9, -v9, v17, v16
	v_mul_f32_e32 v16, v18, v12
	s_delay_alu instid0(VALU_DEP_2) | instskip(SKIP_1) | instid1(VALU_DEP_2)
	v_div_fmas_f32 v8, v9, v8, v17
	s_mov_b32 vcc_lo, s1
	v_fma_f32 v9, -v15, v16, v18
	s_delay_alu instid0(VALU_DEP_2) | instskip(SKIP_1) | instid1(VALU_DEP_3)
	v_div_fixup_f32 v17, v8, v10, v14
	v_lshl_or_b32 v8, s7, 8, v80
	v_dual_fmac_f32 v16, v9, v12 :: v_dual_mov_b32 v9, 0
	s_delay_alu instid0(VALU_DEP_3) | instskip(NEXT) | instid1(VALU_DEP_2)
	v_cndmask_b32_e64 v14, v14, v17, s0
	v_fma_f32 v15, -v15, v16, v18
	s_delay_alu instid0(VALU_DEP_3) | instskip(NEXT) | instid1(VALU_DEP_2)
	v_lshlrev_b64 v[8:9], 2, v[8:9]
	v_div_fmas_f32 v12, v15, v12, v16
	v_cmp_ne_u32_e32 vcc_lo, 1, v82
	s_delay_alu instid0(VALU_DEP_3) | instskip(NEXT) | instid1(VALU_DEP_1)
	v_add_co_u32 v8, s1, s28, v8
	v_add_co_ci_u32_e64 v9, s1, s29, v9, s1
	s_delay_alu instid0(VALU_DEP_4) | instskip(SKIP_1) | instid1(VALU_DEP_1)
	v_div_fixup_f32 v12, v12, v10, v1
	s_and_b32 vcc_lo, exec_lo, vcc_lo
	v_cndmask_b32_e64 v12, v1, v12, s0
	v_mov_b32_e32 v1, v13
	s_clause 0x1
	global_store_b32 v[8:9], v14, off
	global_store_b32 v[8:9], v12, off offset:512
	s_waitcnt_vscnt null, 0x0
	s_barrier
	buffer_gl0_inv
	s_cbranch_vccnz .LBB31_136
; %bb.133:
	v_or_b32_e32 v1, 0x2000, v79
	scratch_load_b128 v[14:17], off, off offset:64
	v_or_b32_e32 v18, 0x80, v7
	v_or_b32_e32 v32, 0x100, v7
	;; [unrolled: 1-line block ×3, first 2 shown]
	ds_load_b32 v1, v1 offset:128
	s_clause 0x2
	scratch_load_b128 v[20:23], off, off offset:80
	scratch_load_b128 v[24:27], off, off offset:96
	;; [unrolled: 1-line block ×3, first 2 shown]
	s_waitcnt lgkmcnt(0)
	ds_bpermute_b32 v8, v6, v1
	s_waitcnt lgkmcnt(0)
	v_dual_max_f32 v1, v1, v1 :: v_dual_max_f32 v8, v8, v8
	s_delay_alu instid0(VALU_DEP_1) | instskip(SKIP_3) | instid1(VALU_DEP_1)
	v_max_f32_e32 v1, v1, v8
	ds_bpermute_b32 v8, v5, v1
	s_waitcnt lgkmcnt(0)
	v_max_f32_e32 v8, v8, v8
	v_max_f32_e32 v1, v1, v8
	ds_bpermute_b32 v8, v4, v1
	s_waitcnt lgkmcnt(0)
	v_max_f32_e32 v8, v8, v8
	s_delay_alu instid0(VALU_DEP_1) | instskip(SKIP_3) | instid1(VALU_DEP_1)
	v_max_f32_e32 v1, v1, v8
	ds_bpermute_b32 v8, v3, v1
	s_waitcnt lgkmcnt(0)
	v_max_f32_e32 v8, v8, v8
	v_max_f32_e32 v1, v1, v8
	ds_bpermute_b32 v8, v2, v1
	s_waitcnt lgkmcnt(0)
	v_max_f32_e32 v8, v8, v8
	s_delay_alu instid0(VALU_DEP_1) | instskip(NEXT) | instid1(VALU_DEP_1)
	v_max_f32_e32 v1, v1, v8
	v_sub_f32_e32 v8, v13, v1
	s_delay_alu instid0(VALU_DEP_1) | instskip(SKIP_1) | instid1(VALU_DEP_2)
	v_mul_f32_e32 v9, 0x3fb8aa3b, v8
	v_cmp_ngt_f32_e32 vcc_lo, 0xc2ce8ed0, v8
	v_fma_f32 v12, 0x3fb8aa3b, v8, -v9
	v_rndne_f32_e32 v13, v9
	s_delay_alu instid0(VALU_DEP_1) | instskip(NEXT) | instid1(VALU_DEP_1)
	v_dual_fmamk_f32 v12, v8, 0x32a5705f, v12 :: v_dual_sub_f32 v9, v9, v13
	v_add_f32_e32 v9, v9, v12
	v_cvt_i32_f32_e32 v12, v13
	s_delay_alu instid0(VALU_DEP_2) | instskip(SKIP_2) | instid1(VALU_DEP_1)
	v_exp_f32_e32 v9, v9
	s_waitcnt_depctr 0xfff
	v_ldexp_f32 v9, v9, v12
	v_cndmask_b32_e32 v9, 0, v9, vcc_lo
	v_cmp_nlt_f32_e32 vcc_lo, 0x42b17218, v8
	s_delay_alu instid0(VALU_DEP_2) | instskip(NEXT) | instid1(VALU_DEP_1)
	v_cndmask_b32_e32 v8, 0x7f800000, v9, vcc_lo
	v_mul_f32_e32 v9, v11, v8
	ds_bpermute_b32 v9, v6, v9
	s_waitcnt lgkmcnt(0)
	v_fmac_f32_e32 v9, v11, v8
	v_cvt_f16_f32_e32 v8, v8
	ds_bpermute_b32 v11, v5, v9
	s_waitcnt lgkmcnt(0)
	v_add_f32_e32 v9, v9, v11
	ds_bpermute_b32 v11, v4, v9
	s_waitcnt lgkmcnt(0)
	v_add_f32_e32 v9, v9, v11
	ds_bpermute_b32 v11, v3, v9
	s_waitcnt vmcnt(3)
	v_pk_mul_f16 v12, v8, v14 op_sel_hi:[0,1]
	v_pk_mul_f16 v13, v8, v15 op_sel_hi:[0,1]
	v_pk_mul_f16 v14, v8, v16 op_sel_hi:[0,1]
	v_pk_mul_f16 v15, v8, v17 op_sel_hi:[0,1]
	s_waitcnt vmcnt(2)
	v_pk_mul_f16 v20, v8, v20 op_sel_hi:[0,1]
	v_pk_mul_f16 v21, v8, v21 op_sel_hi:[0,1]
	s_waitcnt lgkmcnt(0)
	v_add_f32_e32 v9, v9, v11
	v_pk_mul_f16 v22, v8, v22 op_sel_hi:[0,1]
	v_pk_mul_f16 v23, v8, v23 op_sel_hi:[0,1]
	s_waitcnt vmcnt(1)
	v_pk_mul_f16 v24, v8, v24 op_sel_hi:[0,1]
	v_pk_mul_f16 v25, v8, v25 op_sel_hi:[0,1]
	ds_bpermute_b32 v11, v2, v9
	v_pk_mul_f16 v26, v8, v26 op_sel_hi:[0,1]
	v_pk_mul_f16 v27, v8, v27 op_sel_hi:[0,1]
	s_waitcnt vmcnt(0)
	v_pk_mul_f16 v28, v8, v28 op_sel_hi:[0,1]
	v_pk_mul_f16 v29, v8, v29 op_sel_hi:[0,1]
	;; [unrolled: 1-line block ×4, first 2 shown]
	v_add_nc_u32_e32 v8, 0x2100, v79
	s_clause 0x3
	scratch_store_b128 off, v[12:15], off offset:64
	scratch_store_b128 off, v[20:23], off offset:80
	;; [unrolled: 1-line block ×4, first 2 shown]
	ds_store_b128 v7, v[12:15]
	ds_store_b128 v18, v[20:23]
	;; [unrolled: 1-line block ×4, first 2 shown]
	s_and_saveexec_b32 s1, s2
	s_cbranch_execz .LBB31_135
; %bb.134:
	v_lshlrev_b32_e32 v7, 2, v81
	s_waitcnt lgkmcnt(4)
	v_add_f32_e32 v9, v9, v11
	ds_store_b32 v7, v9 offset:8576
.LBB31_135:
	s_or_b32 exec_lo, exec_lo, s1
	s_waitcnt lgkmcnt(0)
	s_waitcnt_vscnt null, 0x0
	s_barrier
	buffer_gl0_inv
	ds_load_b32 v7, v8 offset:128
	ds_load_u16 v8, v19
	ds_load_u16 v9, v19 offset:1280
	ds_load_u16 v11, v19 offset:768
	;; [unrolled: 1-line block ×6, first 2 shown]
	s_add_i32 s6, s6, s35
	s_delay_alu instid0(SALU_CYCLE_1) | instskip(NEXT) | instid1(SALU_CYCLE_1)
	s_mul_i32 s2, s3, s6
	s_add_i32 s2, s2, s14
	s_waitcnt lgkmcnt(7)
	ds_bpermute_b32 v6, v6, v7
	s_waitcnt lgkmcnt(7)
	v_cvt_f32_f16_e32 v8, v8
	s_waitcnt lgkmcnt(6)
	v_cvt_f32_f16_e32 v9, v9
	;; [unrolled: 2-line block ×3, first 2 shown]
	v_cvt_f32_f16_e32 v12, v12
	s_waitcnt lgkmcnt(2)
	v_cvt_f32_f16_e32 v14, v14
	v_cvt_f32_f16_e32 v11, v11
	s_waitcnt lgkmcnt(0)
	v_add_f32_e32 v6, v7, v6
	ds_load_u16 v7, v19 offset:3584
	ds_load_u16 v16, v19 offset:3328
	;; [unrolled: 1-line block ×17, first 2 shown]
	ds_bpermute_b32 v5, v5, v6
	v_add_f32_e32 v8, 0, v8
	s_waitcnt lgkmcnt(17)
	v_cvt_f32_f16_e32 v7, v7
	s_waitcnt lgkmcnt(15)
	v_cvt_f32_f16_e32 v17, v17
	;; [unrolled: 2-line block ×3, first 2 shown]
	s_waitcnt lgkmcnt(0)
	v_dual_add_f32 v5, v6, v5 :: v_dual_add_f32 v6, 0, v12
	v_cvt_f32_f16_e32 v12, v15
	v_cvt_f32_f16_e32 v15, v20
	;; [unrolled: 1-line block ×3, first 2 shown]
	ds_bpermute_b32 v4, v4, v5
	s_waitcnt lgkmcnt(0)
	v_add_f32_e32 v4, v5, v4
	v_cvt_f32_f16_e32 v5, v16
	v_cvt_f32_f16_e32 v16, v29
	v_add_f32_e32 v8, v8, v13
	v_cvt_f32_f16_e32 v13, v22
	ds_bpermute_b32 v3, v3, v4
	v_add_f32_e32 v8, v8, v14
	v_cvt_f32_f16_e32 v14, v23
	s_delay_alu instid0(VALU_DEP_2) | instskip(NEXT) | instid1(VALU_DEP_1)
	v_add_f32_e32 v8, v8, v12
	v_add_f32_e32 v8, v8, v13
	s_delay_alu instid0(VALU_DEP_1) | instskip(SKIP_3) | instid1(VALU_DEP_3)
	v_add_f32_e32 v8, v8, v15
	v_cvt_f32_f16_e32 v15, v31
	s_waitcnt lgkmcnt(0)
	v_add_f32_e32 v3, v4, v3
	v_add_f32_e32 v8, v8, v17
	v_cvt_f32_f16_e32 v17, v27
	v_add_f32_e32 v6, v6, v11
	ds_load_u16 v11, v19 offset:6912
	ds_bpermute_b32 v2, v2, v3
	v_dual_add_f32 v7, v8, v7 :: v_dual_add_f32 v6, v6, v9
	ds_load_u16 v9, v19 offset:6656
	ds_load_u16 v12, v19 offset:6400
	v_add_f32_e32 v6, v6, v14
	ds_load_u16 v13, v19 offset:6144
	ds_load_u16 v14, v19 offset:5888
	;; [unrolled: 1-line block ×3, first 2 shown]
	v_add_f32_e32 v6, v6, v20
	s_delay_alu instid0(VALU_DEP_1) | instskip(SKIP_1) | instid1(VALU_DEP_2)
	v_add_f32_e32 v6, v6, v18
	v_cvt_f32_f16_e32 v18, v25
	v_add_f32_e32 v5, v6, v5
	v_cvt_f32_f16_e32 v6, v30
	s_waitcnt lgkmcnt(3)
	v_cvt_f32_f16_e32 v12, v12
	s_delay_alu instid0(VALU_DEP_3)
	v_add_f32_e32 v5, v5, v15
	v_cvt_f32_f16_e32 v15, v28
	v_add_f32_e32 v6, v7, v6
	ds_load_u16 v7, v19 offset:7680
	s_waitcnt lgkmcnt(2)
	v_cvt_f32_f16_e32 v4, v14
	v_add_f32_e32 v5, v5, v16
	v_cvt_f32_f16_e32 v16, v26
	v_add_f32_e32 v6, v6, v15
	ds_load_u16 v15, v19 offset:7936
	v_cvt_f32_f16_e32 v13, v13
	v_add_f32_e32 v5, v5, v17
	v_cvt_f32_f16_e32 v17, v24
	v_add_f32_e32 v6, v6, v16
	s_waitcnt lgkmcnt(2)
	v_cvt_f32_f16_e32 v8, v8
	s_delay_alu instid0(VALU_DEP_2) | instskip(NEXT) | instid1(VALU_DEP_1)
	v_dual_add_f32 v5, v5, v18 :: v_dual_add_f32 v6, v6, v17
	v_add_f32_e32 v4, v5, v4
	v_cvt_f32_f16_e32 v5, v9
	s_delay_alu instid0(VALU_DEP_3)
	v_add_f32_e32 v6, v6, v13
	v_cvt_f32_f16_e32 v9, v11
	s_waitcnt lgkmcnt(1)
	v_cvt_f32_f16_e32 v7, v7
	v_dual_add_f32 v4, v4, v12 :: v_dual_add_f32 v11, v3, v2
	v_add_f32_e32 v5, v6, v5
	v_cvt_f32_f16_e32 v6, v32
	s_delay_alu instid0(VALU_DEP_2) | instskip(SKIP_2) | instid1(VALU_DEP_2)
	v_dual_add_f32 v4, v4, v9 :: v_dual_add_f32 v5, v5, v8
	s_waitcnt lgkmcnt(0)
	v_cvt_f32_f16_e32 v8, v15
	v_dual_add_f32 v4, v4, v6 :: v_dual_add_f32 v5, v5, v7
	s_delay_alu instid0(VALU_DEP_1) | instskip(NEXT) | instid1(VALU_DEP_2)
	v_add_f32_e32 v4, v4, v8
	v_div_scale_f32 v2, null, v11, v11, v5
	v_div_scale_f32 v12, vcc_lo, v5, v11, v5
	s_delay_alu instid0(VALU_DEP_3) | instskip(NEXT) | instid1(VALU_DEP_3)
	v_div_scale_f32 v6, null, v11, v11, v4
	v_rcp_f32_e32 v7, v2
	v_div_scale_f32 v13, s1, v4, v11, v4
	s_delay_alu instid0(VALU_DEP_2) | instskip(SKIP_3) | instid1(VALU_DEP_1)
	v_rcp_f32_e32 v8, v6
	s_waitcnt_depctr 0xfff
	v_fma_f32 v3, -v2, v7, 1.0
	v_fma_f32 v9, -v6, v8, 1.0
	v_dual_fmac_f32 v7, v3, v7 :: v_dual_fmac_f32 v8, v9, v8
	s_delay_alu instid0(VALU_DEP_1) | instskip(NEXT) | instid1(VALU_DEP_1)
	v_dual_mul_f32 v9, v12, v7 :: v_dual_mul_f32 v14, v13, v8
	v_fma_f32 v3, -v2, v9, v12
	s_delay_alu instid0(VALU_DEP_2) | instskip(NEXT) | instid1(VALU_DEP_2)
	v_fma_f32 v15, -v6, v14, v13
	v_fmac_f32_e32 v9, v3, v7
	s_delay_alu instid0(VALU_DEP_2) | instskip(NEXT) | instid1(VALU_DEP_2)
	v_dual_mov_b32 v3, 0 :: v_dual_fmac_f32 v14, v15, v8
	v_fma_f32 v12, -v2, v9, v12
	v_lshl_or_b32 v2, s2, 8, v80
	s_delay_alu instid0(VALU_DEP_3) | instskip(NEXT) | instid1(VALU_DEP_3)
	v_fma_f32 v6, -v6, v14, v13
	v_div_fmas_f32 v7, v12, v7, v9
	s_mov_b32 vcc_lo, s1
	s_delay_alu instid0(VALU_DEP_3) | instskip(NEXT) | instid1(VALU_DEP_3)
	v_lshlrev_b64 v[2:3], 2, v[2:3]
	v_div_fmas_f32 v6, v6, v8, v14
	s_delay_alu instid0(VALU_DEP_3) | instskip(NEXT) | instid1(VALU_DEP_2)
	v_div_fixup_f32 v7, v7, v11, v5
	v_div_fixup_f32 v6, v6, v11, v4
	s_delay_alu instid0(VALU_DEP_4) | instskip(SKIP_1) | instid1(VALU_DEP_4)
	v_add_co_u32 v2, vcc_lo, s28, v2
	v_add_co_ci_u32_e32 v3, vcc_lo, s29, v3, vcc_lo
	v_cndmask_b32_e64 v5, v5, v7, s0
	s_delay_alu instid0(VALU_DEP_4)
	v_cndmask_b32_e64 v4, v4, v6, s0
	s_clause 0x1
	global_store_b32 v[2:3], v5, off
	global_store_b32 v[2:3], v4, off offset:512
.LBB31_136:
	v_dual_mov_b32 v13, v1 :: v_dual_mov_b32 v12, v0
.LBB31_137:
	s_load_b32 s1, s[4:5], 0x4
	v_or_b32_e32 v0, s15, v78
	v_cmp_gt_u32_e32 vcc_lo, 2, v80
	s_delay_alu instid0(VALU_DEP_2) | instskip(SKIP_3) | instid1(SALU_CYCLE_1)
	v_cmp_gt_i32_e64 s0, s34, v0
	s_waitcnt lgkmcnt(0)
	s_cmp_lg_u32 s1, 1
	s_cselect_b32 s2, -1, 0
	s_and_b32 s2, vcc_lo, s2
	s_delay_alu instid0(SALU_CYCLE_1) | instskip(NEXT) | instid1(SALU_CYCLE_1)
	s_and_b32 s0, s2, s0
	s_and_saveexec_b32 s2, s0
	s_cbranch_execz .LBB31_139
; %bb.138:
	v_mad_u64_u32 v[1:2], null, s33, s34, v[0:1]
	v_cmp_eq_u32_e32 vcc_lo, 1, v80
	s_delay_alu instid0(VALU_DEP_2) | instskip(SKIP_1) | instid1(VALU_DEP_2)
	v_mad_u64_u32 v[2:3], null, v1, s35, s[12:13]
	v_cndmask_b32_e32 v3, v10, v11, vcc_lo
	v_mad_u64_u32 v[0:1], null, s1, v2, s[14:15]
	v_dual_mov_b32 v1, 0 :: v_dual_cndmask_b32 v2, v12, v13
	s_delay_alu instid0(VALU_DEP_1) | instskip(NEXT) | instid1(VALU_DEP_1)
	v_lshlrev_b64 v[0:1], 3, v[0:1]
	v_add_co_u32 v0, vcc_lo, s30, v0
	s_delay_alu instid0(VALU_DEP_2)
	v_add_co_ci_u32_e32 v1, vcc_lo, s31, v1, vcc_lo
	global_store_b64 v[0:1], v[2:3], off
.LBB31_139:
	s_nop 0
	s_sendmsg sendmsg(MSG_DEALLOC_VGPRS)
	s_endpgm
	.section	.rodata,"a",@progbits
	.p2align	6, 0x0
	.amdhsa_kernel _ZL18flash_attn_ext_vecILi256ELi2EL9ggml_type30ELS0_1ELb1EEvPKcS2_S2_S2_S2_PKiPfP15HIP_vector_typeIfLj2EEffffjfiS6_IjLj3EEiiiiiiiiiiiliiliiiiil
		.amdhsa_group_segment_fixed_size 8704
		.amdhsa_private_segment_fixed_size 272
		.amdhsa_kernarg_size 464
		.amdhsa_user_sgpr_count 13
		.amdhsa_user_sgpr_dispatch_ptr 0
		.amdhsa_user_sgpr_queue_ptr 0
		.amdhsa_user_sgpr_kernarg_segment_ptr 1
		.amdhsa_user_sgpr_dispatch_id 0
		.amdhsa_user_sgpr_private_segment_size 0
		.amdhsa_wavefront_size32 1
		.amdhsa_uses_dynamic_stack 0
		.amdhsa_enable_private_segment 1
		.amdhsa_system_sgpr_workgroup_id_x 1
		.amdhsa_system_sgpr_workgroup_id_y 1
		.amdhsa_system_sgpr_workgroup_id_z 1
		.amdhsa_system_sgpr_workgroup_info 0
		.amdhsa_system_vgpr_workitem_id 1
		.amdhsa_next_free_vgpr 256
		.amdhsa_next_free_sgpr 52
		.amdhsa_reserve_vcc 1
		.amdhsa_float_round_mode_32 0
		.amdhsa_float_round_mode_16_64 0
		.amdhsa_float_denorm_mode_32 3
		.amdhsa_float_denorm_mode_16_64 3
		.amdhsa_dx10_clamp 1
		.amdhsa_ieee_mode 1
		.amdhsa_fp16_overflow 0
		.amdhsa_workgroup_processor_mode 1
		.amdhsa_memory_ordered 1
		.amdhsa_forward_progress 0
		.amdhsa_shared_vgpr_count 0
		.amdhsa_exception_fp_ieee_invalid_op 0
		.amdhsa_exception_fp_denorm_src 0
		.amdhsa_exception_fp_ieee_div_zero 0
		.amdhsa_exception_fp_ieee_overflow 0
		.amdhsa_exception_fp_ieee_underflow 0
		.amdhsa_exception_fp_ieee_inexact 0
		.amdhsa_exception_int_div_zero 0
	.end_amdhsa_kernel
	.section	.text._ZL18flash_attn_ext_vecILi256ELi2EL9ggml_type30ELS0_1ELb1EEvPKcS2_S2_S2_S2_PKiPfP15HIP_vector_typeIfLj2EEffffjfiS6_IjLj3EEiiiiiiiiiiiliiliiiiil,"axG",@progbits,_ZL18flash_attn_ext_vecILi256ELi2EL9ggml_type30ELS0_1ELb1EEvPKcS2_S2_S2_S2_PKiPfP15HIP_vector_typeIfLj2EEffffjfiS6_IjLj3EEiiiiiiiiiiiliiliiiiil,comdat
.Lfunc_end31:
	.size	_ZL18flash_attn_ext_vecILi256ELi2EL9ggml_type30ELS0_1ELb1EEvPKcS2_S2_S2_S2_PKiPfP15HIP_vector_typeIfLj2EEffffjfiS6_IjLj3EEiiiiiiiiiiiliiliiiiil, .Lfunc_end31-_ZL18flash_attn_ext_vecILi256ELi2EL9ggml_type30ELS0_1ELb1EEvPKcS2_S2_S2_S2_PKiPfP15HIP_vector_typeIfLj2EEffffjfiS6_IjLj3EEiiiiiiiiiiiliiliiiiil
                                        ; -- End function
	.section	.AMDGPU.csdata,"",@progbits
; Kernel info:
; codeLenInByte = 26016
; NumSgprs: 54
; NumVgprs: 256
; ScratchSize: 272
; MemoryBound: 1
; FloatMode: 240
; IeeeMode: 1
; LDSByteSize: 8704 bytes/workgroup (compile time only)
; SGPRBlocks: 6
; VGPRBlocks: 31
; NumSGPRsForWavesPerEU: 54
; NumVGPRsForWavesPerEU: 256
; Occupancy: 5
; WaveLimiterHint : 1
; COMPUTE_PGM_RSRC2:SCRATCH_EN: 1
; COMPUTE_PGM_RSRC2:USER_SGPR: 13
; COMPUTE_PGM_RSRC2:TRAP_HANDLER: 0
; COMPUTE_PGM_RSRC2:TGID_X_EN: 1
; COMPUTE_PGM_RSRC2:TGID_Y_EN: 1
; COMPUTE_PGM_RSRC2:TGID_Z_EN: 1
; COMPUTE_PGM_RSRC2:TIDIG_COMP_CNT: 1
	.text
	.p2alignl 7, 3214868480
	.fill 96, 4, 3214868480
	.type	.str.1,@object                  ; @.str.1
	.section	.rodata.str1.1,"aMS",@progbits,1
.str.1:
	.asciz	"/root/src/amdgpu-assembly/repos/ggml-org__llama.cpp/ggml/src/ggml-cuda/template-instances/../fattn-vec.cuh"
	.size	.str.1, 107

	.type	__FUNCTION__._ZL18flash_attn_ext_vecILi64ELi1EL9ggml_type30ELS0_1ELb1EEvPKcS2_S2_S2_S2_PKiPfP15HIP_vector_typeIfLj2EEffffjfiS6_IjLj3EEiiiiiiiiiiiliiliiiiil,@object ; @__FUNCTION__._ZL18flash_attn_ext_vecILi64ELi1EL9ggml_type30ELS0_1ELb1EEvPKcS2_S2_S2_S2_PKiPfP15HIP_vector_typeIfLj2EEffffjfiS6_IjLj3EEiiiiiiiiiiiliiliiiiil
__FUNCTION__._ZL18flash_attn_ext_vecILi64ELi1EL9ggml_type30ELS0_1ELb1EEvPKcS2_S2_S2_S2_PKiPfP15HIP_vector_typeIfLj2EEffffjfiS6_IjLj3EEiiiiiiiiiiiliiliiiiil:
	.asciz	"flash_attn_ext_vec"
	.size	__FUNCTION__._ZL18flash_attn_ext_vecILi64ELi1EL9ggml_type30ELS0_1ELb1EEvPKcS2_S2_S2_S2_PKiPfP15HIP_vector_typeIfLj2EEffffjfiS6_IjLj3EEiiiiiiiiiiiliiliiiiil, 19

	.type	.str.3,@object                  ; @.str.3
.str.3:
	.asciz	"%s:%d: ERROR: HIP kernel %s has no device code compatible with HIP arch %d.\n"
	.size	.str.3, 77

	.type	__hip_cuid_48b8f13cee789486,@object ; @__hip_cuid_48b8f13cee789486
	.section	.bss,"aw",@nobits
	.globl	__hip_cuid_48b8f13cee789486
__hip_cuid_48b8f13cee789486:
	.byte	0                               ; 0x0
	.size	__hip_cuid_48b8f13cee789486, 1

	.ident	"AMD clang version 19.0.0git (https://github.com/RadeonOpenCompute/llvm-project roc-6.4.0 25133 c7fe45cf4b819c5991fe208aaa96edf142730f1d)"
	.section	".note.GNU-stack","",@progbits
	.addrsig
	.addrsig_sym __hip_cuid_48b8f13cee789486
	.amdgpu_metadata
---
amdhsa.kernels:
  - .args:
      - .address_space:  global
        .offset:         0
        .size:           8
        .value_kind:     global_buffer
      - .address_space:  global
        .offset:         8
        .size:           8
        .value_kind:     global_buffer
      - .address_space:  global
        .offset:         16
        .size:           8
        .value_kind:     global_buffer
      - .address_space:  global
        .offset:         24
        .size:           8
        .value_kind:     global_buffer
      - .address_space:  global
        .offset:         32
        .size:           8
        .value_kind:     global_buffer
      - .address_space:  global
        .offset:         40
        .size:           8
        .value_kind:     global_buffer
      - .address_space:  global
        .offset:         48
        .size:           8
        .value_kind:     global_buffer
      - .address_space:  global
        .offset:         56
        .size:           8
        .value_kind:     global_buffer
      - .offset:         64
        .size:           4
        .value_kind:     by_value
      - .offset:         68
        .size:           4
        .value_kind:     by_value
      - .offset:         72
        .size:           4
        .value_kind:     by_value
      - .offset:         76
        .size:           4
        .value_kind:     by_value
      - .offset:         80
        .size:           4
        .value_kind:     by_value
      - .offset:         84
        .size:           4
        .value_kind:     by_value
      - .offset:         88
        .size:           4
        .value_kind:     by_value
      - .offset:         92
        .size:           12
        .value_kind:     by_value
      - .offset:         104
        .size:           4
        .value_kind:     by_value
      - .offset:         108
        .size:           4
        .value_kind:     by_value
      - .offset:         112
        .size:           4
        .value_kind:     by_value
      - .offset:         116
        .size:           4
        .value_kind:     by_value
      - .offset:         120
        .size:           4
        .value_kind:     by_value
      - .offset:         124
        .size:           4
        .value_kind:     by_value
      - .offset:         128
        .size:           4
        .value_kind:     by_value
      - .offset:         132
        .size:           4
        .value_kind:     by_value
      - .offset:         136
        .size:           4
        .value_kind:     by_value
      - .offset:         140
        .size:           4
        .value_kind:     by_value
      - .offset:         144
        .size:           4
        .value_kind:     by_value
      - .offset:         152
        .size:           8
        .value_kind:     by_value
      - .offset:         160
        .size:           4
        .value_kind:     by_value
      - .offset:         164
        .size:           4
        .value_kind:     by_value
      - .offset:         168
        .size:           8
        .value_kind:     by_value
      - .offset:         176
        .size:           4
        .value_kind:     by_value
      - .offset:         180
        .size:           4
        .value_kind:     by_value
      - .offset:         184
        .size:           4
        .value_kind:     by_value
      - .offset:         188
        .size:           4
        .value_kind:     by_value
      - .offset:         192
        .size:           4
        .value_kind:     by_value
      - .offset:         200
        .size:           8
        .value_kind:     by_value
      - .offset:         208
        .size:           4
        .value_kind:     hidden_block_count_x
      - .offset:         212
        .size:           4
        .value_kind:     hidden_block_count_y
      - .offset:         216
        .size:           4
        .value_kind:     hidden_block_count_z
      - .offset:         220
        .size:           2
        .value_kind:     hidden_group_size_x
      - .offset:         222
        .size:           2
        .value_kind:     hidden_group_size_y
      - .offset:         224
        .size:           2
        .value_kind:     hidden_group_size_z
      - .offset:         226
        .size:           2
        .value_kind:     hidden_remainder_x
      - .offset:         228
        .size:           2
        .value_kind:     hidden_remainder_y
      - .offset:         230
        .size:           2
        .value_kind:     hidden_remainder_z
      - .offset:         248
        .size:           8
        .value_kind:     hidden_global_offset_x
      - .offset:         256
        .size:           8
        .value_kind:     hidden_global_offset_y
      - .offset:         264
        .size:           8
        .value_kind:     hidden_global_offset_z
      - .offset:         272
        .size:           2
        .value_kind:     hidden_grid_dims
    .group_segment_fixed_size: 2304
    .kernarg_segment_align: 8
    .kernarg_segment_size: 464
    .language:       OpenCL C
    .language_version:
      - 2
      - 0
    .max_flat_workgroup_size: 128
    .name:           _ZL18flash_attn_ext_vecILi64ELi1EL9ggml_type30ELS0_1ELb0EEvPKcS2_S2_S2_S2_PKiPfP15HIP_vector_typeIfLj2EEffffjfiS6_IjLj3EEiiiiiiiiiiiliiliiiiil
    .private_segment_fixed_size: 0
    .sgpr_count:     56
    .sgpr_spill_count: 0
    .symbol:         _ZL18flash_attn_ext_vecILi64ELi1EL9ggml_type30ELS0_1ELb0EEvPKcS2_S2_S2_S2_PKiPfP15HIP_vector_typeIfLj2EEffffjfiS6_IjLj3EEiiiiiiiiiiiliiliiiiil.kd
    .uniform_work_group_size: 1
    .uses_dynamic_stack: false
    .vgpr_count:     109
    .vgpr_spill_count: 0
    .wavefront_size: 32
    .workgroup_processor_mode: 1
  - .args:
      - .actual_access:  read_only
        .address_space:  global
        .offset:         0
        .size:           8
        .value_kind:     global_buffer
      - .actual_access:  write_only
        .address_space:  global
        .offset:         8
        .size:           8
        .value_kind:     global_buffer
      - .offset:         16
        .size:           4
        .value_kind:     by_value
      - .offset:         20
        .size:           4
        .value_kind:     by_value
      - .offset:         24
        .size:           4
        .value_kind:     by_value
      - .offset:         32
        .size:           4
        .value_kind:     hidden_block_count_x
      - .offset:         36
        .size:           4
        .value_kind:     hidden_block_count_y
      - .offset:         40
        .size:           4
        .value_kind:     hidden_block_count_z
      - .offset:         44
        .size:           2
        .value_kind:     hidden_group_size_x
      - .offset:         46
        .size:           2
        .value_kind:     hidden_group_size_y
      - .offset:         48
        .size:           2
        .value_kind:     hidden_group_size_z
      - .offset:         50
        .size:           2
        .value_kind:     hidden_remainder_x
      - .offset:         52
        .size:           2
        .value_kind:     hidden_remainder_y
      - .offset:         54
        .size:           2
        .value_kind:     hidden_remainder_z
      - .offset:         72
        .size:           8
        .value_kind:     hidden_global_offset_x
      - .offset:         80
        .size:           8
        .value_kind:     hidden_global_offset_y
      - .offset:         88
        .size:           8
        .value_kind:     hidden_global_offset_z
      - .offset:         96
        .size:           2
        .value_kind:     hidden_grid_dims
    .group_segment_fixed_size: 128
    .kernarg_segment_align: 8
    .kernarg_segment_size: 288
    .language:       OpenCL C
    .language_version:
      - 2
      - 0
    .max_flat_workgroup_size: 128
    .name:           _ZL25flash_attn_mask_to_KV_maxILi1EEvPK7__half2Piiii
    .private_segment_fixed_size: 0
    .sgpr_count:     18
    .sgpr_spill_count: 0
    .symbol:         _ZL25flash_attn_mask_to_KV_maxILi1EEvPK7__half2Piiii.kd
    .uniform_work_group_size: 1
    .uses_dynamic_stack: false
    .vgpr_count:     7
    .vgpr_spill_count: 0
    .wavefront_size: 32
    .workgroup_processor_mode: 1
  - .args:
      - .address_space:  global
        .offset:         0
        .size:           8
        .value_kind:     global_buffer
      - .address_space:  global
        .offset:         8
        .size:           8
        .value_kind:     global_buffer
      - .offset:         16
        .size:           4
        .value_kind:     by_value
      - .offset:         20
        .size:           4
        .value_kind:     by_value
      - .offset:         24
        .size:           4
        .value_kind:     by_value
      - .offset:         28
        .size:           4
        .value_kind:     by_value
      - .offset:         32
        .size:           4
        .value_kind:     by_value
      - .offset:         36
        .size:           4
        .value_kind:     by_value
      - .offset:         40
        .size:           12
        .value_kind:     by_value
      - .offset:         52
        .size:           12
        .value_kind:     by_value
      - .offset:         64
        .size:           12
        .value_kind:     by_value
    .group_segment_fixed_size: 0
    .kernarg_segment_align: 8
    .kernarg_segment_size: 76
    .language:       OpenCL C
    .language_version:
      - 2
      - 0
    .max_flat_workgroup_size: 64
    .name:           _ZL33flash_attn_stream_k_fixup_uniformILi64ELi1ELi1EEvPfPK15HIP_vector_typeIfLj2EEiiiiiiS1_IjLj3EES5_S5_
    .private_segment_fixed_size: 0
    .sgpr_count:     22
    .sgpr_spill_count: 0
    .symbol:         _ZL33flash_attn_stream_k_fixup_uniformILi64ELi1ELi1EEvPfPK15HIP_vector_typeIfLj2EEiiiiiiS1_IjLj3EES5_S5_.kd
    .uniform_work_group_size: 1
    .uses_dynamic_stack: false
    .vgpr_count:     15
    .vgpr_spill_count: 0
    .wavefront_size: 32
    .workgroup_processor_mode: 1
  - .args:
      - .address_space:  global
        .offset:         0
        .size:           8
        .value_kind:     global_buffer
      - .address_space:  global
        .offset:         8
        .size:           8
        .value_kind:     global_buffer
      - .offset:         16
        .size:           4
        .value_kind:     by_value
      - .offset:         20
        .size:           4
        .value_kind:     by_value
      - .offset:         24
        .size:           4
        .value_kind:     by_value
      - .offset:         28
        .size:           4
        .value_kind:     by_value
      - .offset:         32
        .size:           12
        .value_kind:     by_value
      - .offset:         44
        .size:           12
        .value_kind:     by_value
      - .offset:         56
        .size:           12
        .value_kind:     by_value
      - .offset:         68
        .size:           12
        .value_kind:     by_value
      - .offset:         80
        .size:           4
        .value_kind:     hidden_block_count_x
      - .offset:         84
        .size:           4
        .value_kind:     hidden_block_count_y
      - .offset:         88
        .size:           4
        .value_kind:     hidden_block_count_z
      - .offset:         92
        .size:           2
        .value_kind:     hidden_group_size_x
      - .offset:         94
        .size:           2
        .value_kind:     hidden_group_size_y
      - .offset:         96
        .size:           2
        .value_kind:     hidden_group_size_z
      - .offset:         98
        .size:           2
        .value_kind:     hidden_remainder_x
      - .offset:         100
        .size:           2
        .value_kind:     hidden_remainder_y
      - .offset:         102
        .size:           2
        .value_kind:     hidden_remainder_z
      - .offset:         120
        .size:           8
        .value_kind:     hidden_global_offset_x
      - .offset:         128
        .size:           8
        .value_kind:     hidden_global_offset_y
      - .offset:         136
        .size:           8
        .value_kind:     hidden_global_offset_z
      - .offset:         144
        .size:           2
        .value_kind:     hidden_grid_dims
    .group_segment_fixed_size: 0
    .kernarg_segment_align: 8
    .kernarg_segment_size: 336
    .language:       OpenCL C
    .language_version:
      - 2
      - 0
    .max_flat_workgroup_size: 64
    .name:           _ZL33flash_attn_stream_k_fixup_generalILi64ELi1ELi1EEvPfPK15HIP_vector_typeIfLj2EEiiiiS1_IjLj3EES5_S5_S5_
    .private_segment_fixed_size: 0
    .sgpr_count:     34
    .sgpr_spill_count: 0
    .symbol:         _ZL33flash_attn_stream_k_fixup_generalILi64ELi1ELi1EEvPfPK15HIP_vector_typeIfLj2EEiiiiS1_IjLj3EES5_S5_S5_.kd
    .uniform_work_group_size: 1
    .uses_dynamic_stack: false
    .vgpr_count:     19
    .vgpr_spill_count: 0
    .wavefront_size: 32
    .workgroup_processor_mode: 1
  - .args:
      - .address_space:  global
        .offset:         0
        .size:           8
        .value_kind:     global_buffer
      - .address_space:  global
        .offset:         8
        .size:           8
        .value_kind:     global_buffer
      - .address_space:  global
        .offset:         16
        .size:           8
        .value_kind:     global_buffer
      - .offset:         24
        .size:           4
        .value_kind:     by_value
      - .offset:         32
        .size:           4
        .value_kind:     hidden_block_count_x
      - .offset:         36
        .size:           4
        .value_kind:     hidden_block_count_y
      - .offset:         40
        .size:           4
        .value_kind:     hidden_block_count_z
      - .offset:         44
        .size:           2
        .value_kind:     hidden_group_size_x
      - .offset:         46
        .size:           2
        .value_kind:     hidden_group_size_y
      - .offset:         48
        .size:           2
        .value_kind:     hidden_group_size_z
      - .offset:         50
        .size:           2
        .value_kind:     hidden_remainder_x
      - .offset:         52
        .size:           2
        .value_kind:     hidden_remainder_y
      - .offset:         54
        .size:           2
        .value_kind:     hidden_remainder_z
      - .offset:         72
        .size:           8
        .value_kind:     hidden_global_offset_x
      - .offset:         80
        .size:           8
        .value_kind:     hidden_global_offset_y
      - .offset:         88
        .size:           8
        .value_kind:     hidden_global_offset_z
      - .offset:         96
        .size:           2
        .value_kind:     hidden_grid_dims
      - .offset:         152
        .size:           4
        .value_kind:     hidden_dynamic_lds_size
    .group_segment_fixed_size: 0
    .kernarg_segment_align: 8
    .kernarg_segment_size: 288
    .language:       OpenCL C
    .language_version:
      - 2
      - 0
    .max_flat_workgroup_size: 64
    .name:           _ZL26flash_attn_combine_resultsILi64EEvPKfPK15HIP_vector_typeIfLj2EEPfi
    .private_segment_fixed_size: 0
    .sgpr_count:     18
    .sgpr_spill_count: 0
    .symbol:         _ZL26flash_attn_combine_resultsILi64EEvPKfPK15HIP_vector_typeIfLj2EEPfi.kd
    .uniform_work_group_size: 1
    .uses_dynamic_stack: false
    .vgpr_count:     55
    .vgpr_spill_count: 0
    .wavefront_size: 32
    .workgroup_processor_mode: 1
  - .args:
      - .address_space:  global
        .offset:         0
        .size:           8
        .value_kind:     global_buffer
      - .address_space:  global
        .offset:         8
        .size:           8
        .value_kind:     global_buffer
      - .address_space:  global
        .offset:         16
        .size:           8
        .value_kind:     global_buffer
      - .address_space:  global
        .offset:         24
        .size:           8
        .value_kind:     global_buffer
      - .address_space:  global
        .offset:         32
        .size:           8
        .value_kind:     global_buffer
      - .address_space:  global
        .offset:         40
        .size:           8
        .value_kind:     global_buffer
      - .address_space:  global
        .offset:         48
        .size:           8
        .value_kind:     global_buffer
      - .address_space:  global
        .offset:         56
        .size:           8
        .value_kind:     global_buffer
      - .offset:         64
        .size:           4
        .value_kind:     by_value
      - .offset:         68
        .size:           4
        .value_kind:     by_value
      - .offset:         72
        .size:           4
        .value_kind:     by_value
      - .offset:         76
        .size:           4
        .value_kind:     by_value
      - .offset:         80
        .size:           4
        .value_kind:     by_value
      - .offset:         84
        .size:           4
        .value_kind:     by_value
      - .offset:         88
        .size:           4
        .value_kind:     by_value
      - .offset:         92
        .size:           12
        .value_kind:     by_value
      - .offset:         104
        .size:           4
        .value_kind:     by_value
      - .offset:         108
        .size:           4
        .value_kind:     by_value
      - .offset:         112
        .size:           4
        .value_kind:     by_value
      - .offset:         116
        .size:           4
        .value_kind:     by_value
      - .offset:         120
        .size:           4
        .value_kind:     by_value
      - .offset:         124
        .size:           4
        .value_kind:     by_value
      - .offset:         128
        .size:           4
        .value_kind:     by_value
      - .offset:         132
        .size:           4
        .value_kind:     by_value
      - .offset:         136
        .size:           4
        .value_kind:     by_value
      - .offset:         140
        .size:           4
        .value_kind:     by_value
      - .offset:         144
        .size:           4
        .value_kind:     by_value
      - .offset:         152
        .size:           8
        .value_kind:     by_value
      - .offset:         160
        .size:           4
        .value_kind:     by_value
      - .offset:         164
        .size:           4
        .value_kind:     by_value
      - .offset:         168
        .size:           8
        .value_kind:     by_value
      - .offset:         176
        .size:           4
        .value_kind:     by_value
      - .offset:         180
        .size:           4
        .value_kind:     by_value
      - .offset:         184
        .size:           4
        .value_kind:     by_value
      - .offset:         188
        .size:           4
        .value_kind:     by_value
      - .offset:         192
        .size:           4
        .value_kind:     by_value
      - .offset:         200
        .size:           8
        .value_kind:     by_value
      - .offset:         208
        .size:           4
        .value_kind:     hidden_block_count_x
      - .offset:         212
        .size:           4
        .value_kind:     hidden_block_count_y
      - .offset:         216
        .size:           4
        .value_kind:     hidden_block_count_z
      - .offset:         220
        .size:           2
        .value_kind:     hidden_group_size_x
      - .offset:         222
        .size:           2
        .value_kind:     hidden_group_size_y
      - .offset:         224
        .size:           2
        .value_kind:     hidden_group_size_z
      - .offset:         226
        .size:           2
        .value_kind:     hidden_remainder_x
      - .offset:         228
        .size:           2
        .value_kind:     hidden_remainder_y
      - .offset:         230
        .size:           2
        .value_kind:     hidden_remainder_z
      - .offset:         248
        .size:           8
        .value_kind:     hidden_global_offset_x
      - .offset:         256
        .size:           8
        .value_kind:     hidden_global_offset_y
      - .offset:         264
        .size:           8
        .value_kind:     hidden_global_offset_z
      - .offset:         272
        .size:           2
        .value_kind:     hidden_grid_dims
      - .offset:         288
        .size:           8
        .value_kind:     hidden_hostcall_buffer
    .group_segment_fixed_size: 0
    .kernarg_segment_align: 8
    .kernarg_segment_size: 464
    .language:       OpenCL C
    .language_version:
      - 2
      - 0
    .max_flat_workgroup_size: 128
    .name:           _ZL18flash_attn_ext_vecILi64ELi1EL9ggml_type30ELS0_1ELb1EEvPKcS2_S2_S2_S2_PKiPfP15HIP_vector_typeIfLj2EEffffjfiS6_IjLj3EEiiiiiiiiiiiliiliiiiil
    .private_segment_fixed_size: 16
    .sgpr_count:     36
    .sgpr_spill_count: 0
    .symbol:         _ZL18flash_attn_ext_vecILi64ELi1EL9ggml_type30ELS0_1ELb1EEvPKcS2_S2_S2_S2_PKiPfP15HIP_vector_typeIfLj2EEffffjfiS6_IjLj3EEiiiiiiiiiiiliiliiiiil.kd
    .uniform_work_group_size: 1
    .uses_dynamic_stack: false
    .vgpr_count:     37
    .vgpr_spill_count: 0
    .wavefront_size: 32
    .workgroup_processor_mode: 1
  - .args:
      - .address_space:  global
        .offset:         0
        .size:           8
        .value_kind:     global_buffer
      - .address_space:  global
        .offset:         8
        .size:           8
        .value_kind:     global_buffer
      - .address_space:  global
        .offset:         16
        .size:           8
        .value_kind:     global_buffer
      - .address_space:  global
        .offset:         24
        .size:           8
        .value_kind:     global_buffer
      - .address_space:  global
        .offset:         32
        .size:           8
        .value_kind:     global_buffer
      - .address_space:  global
        .offset:         40
        .size:           8
        .value_kind:     global_buffer
      - .address_space:  global
        .offset:         48
        .size:           8
        .value_kind:     global_buffer
      - .address_space:  global
        .offset:         56
        .size:           8
        .value_kind:     global_buffer
      - .offset:         64
        .size:           4
        .value_kind:     by_value
      - .offset:         68
        .size:           4
        .value_kind:     by_value
      - .offset:         72
        .size:           4
        .value_kind:     by_value
      - .offset:         76
        .size:           4
        .value_kind:     by_value
      - .offset:         80
        .size:           4
        .value_kind:     by_value
      - .offset:         84
        .size:           4
        .value_kind:     by_value
      - .offset:         88
        .size:           4
        .value_kind:     by_value
      - .offset:         92
        .size:           12
        .value_kind:     by_value
      - .offset:         104
        .size:           4
        .value_kind:     by_value
      - .offset:         108
        .size:           4
        .value_kind:     by_value
      - .offset:         112
        .size:           4
        .value_kind:     by_value
      - .offset:         116
        .size:           4
        .value_kind:     by_value
      - .offset:         120
        .size:           4
        .value_kind:     by_value
      - .offset:         124
        .size:           4
        .value_kind:     by_value
      - .offset:         128
        .size:           4
        .value_kind:     by_value
      - .offset:         132
        .size:           4
        .value_kind:     by_value
      - .offset:         136
        .size:           4
        .value_kind:     by_value
      - .offset:         140
        .size:           4
        .value_kind:     by_value
      - .offset:         144
        .size:           4
        .value_kind:     by_value
      - .offset:         152
        .size:           8
        .value_kind:     by_value
      - .offset:         160
        .size:           4
        .value_kind:     by_value
      - .offset:         164
        .size:           4
        .value_kind:     by_value
      - .offset:         168
        .size:           8
        .value_kind:     by_value
      - .offset:         176
        .size:           4
        .value_kind:     by_value
      - .offset:         180
        .size:           4
        .value_kind:     by_value
      - .offset:         184
        .size:           4
        .value_kind:     by_value
      - .offset:         188
        .size:           4
        .value_kind:     by_value
      - .offset:         192
        .size:           4
        .value_kind:     by_value
      - .offset:         200
        .size:           8
        .value_kind:     by_value
      - .offset:         208
        .size:           4
        .value_kind:     hidden_block_count_x
      - .offset:         212
        .size:           4
        .value_kind:     hidden_block_count_y
      - .offset:         216
        .size:           4
        .value_kind:     hidden_block_count_z
      - .offset:         220
        .size:           2
        .value_kind:     hidden_group_size_x
      - .offset:         222
        .size:           2
        .value_kind:     hidden_group_size_y
      - .offset:         224
        .size:           2
        .value_kind:     hidden_group_size_z
      - .offset:         226
        .size:           2
        .value_kind:     hidden_remainder_x
      - .offset:         228
        .size:           2
        .value_kind:     hidden_remainder_y
      - .offset:         230
        .size:           2
        .value_kind:     hidden_remainder_z
      - .offset:         248
        .size:           8
        .value_kind:     hidden_global_offset_x
      - .offset:         256
        .size:           8
        .value_kind:     hidden_global_offset_y
      - .offset:         264
        .size:           8
        .value_kind:     hidden_global_offset_z
      - .offset:         272
        .size:           2
        .value_kind:     hidden_grid_dims
    .group_segment_fixed_size: 6656
    .kernarg_segment_align: 8
    .kernarg_segment_size: 464
    .language:       OpenCL C
    .language_version:
      - 2
      - 0
    .max_flat_workgroup_size: 128
    .name:           _ZL18flash_attn_ext_vecILi64ELi2EL9ggml_type30ELS0_1ELb0EEvPKcS2_S2_S2_S2_PKiPfP15HIP_vector_typeIfLj2EEffffjfiS6_IjLj3EEiiiiiiiiiiiliiliiiiil
    .private_segment_fixed_size: 0
    .sgpr_count:     62
    .sgpr_spill_count: 0
    .symbol:         _ZL18flash_attn_ext_vecILi64ELi2EL9ggml_type30ELS0_1ELb0EEvPKcS2_S2_S2_S2_PKiPfP15HIP_vector_typeIfLj2EEffffjfiS6_IjLj3EEiiiiiiiiiiiliiliiiiil.kd
    .uniform_work_group_size: 1
    .uses_dynamic_stack: false
    .vgpr_count:     147
    .vgpr_spill_count: 0
    .wavefront_size: 32
    .workgroup_processor_mode: 1
  - .args:
      - .actual_access:  read_only
        .address_space:  global
        .offset:         0
        .size:           8
        .value_kind:     global_buffer
      - .actual_access:  write_only
        .address_space:  global
        .offset:         8
        .size:           8
        .value_kind:     global_buffer
      - .offset:         16
        .size:           4
        .value_kind:     by_value
      - .offset:         20
        .size:           4
        .value_kind:     by_value
      - .offset:         24
        .size:           4
        .value_kind:     by_value
      - .offset:         32
        .size:           4
        .value_kind:     hidden_block_count_x
      - .offset:         36
        .size:           4
        .value_kind:     hidden_block_count_y
      - .offset:         40
        .size:           4
        .value_kind:     hidden_block_count_z
      - .offset:         44
        .size:           2
        .value_kind:     hidden_group_size_x
      - .offset:         46
        .size:           2
        .value_kind:     hidden_group_size_y
      - .offset:         48
        .size:           2
        .value_kind:     hidden_group_size_z
      - .offset:         50
        .size:           2
        .value_kind:     hidden_remainder_x
      - .offset:         52
        .size:           2
        .value_kind:     hidden_remainder_y
      - .offset:         54
        .size:           2
        .value_kind:     hidden_remainder_z
      - .offset:         72
        .size:           8
        .value_kind:     hidden_global_offset_x
      - .offset:         80
        .size:           8
        .value_kind:     hidden_global_offset_y
      - .offset:         88
        .size:           8
        .value_kind:     hidden_global_offset_z
      - .offset:         96
        .size:           2
        .value_kind:     hidden_grid_dims
    .group_segment_fixed_size: 128
    .kernarg_segment_align: 8
    .kernarg_segment_size: 288
    .language:       OpenCL C
    .language_version:
      - 2
      - 0
    .max_flat_workgroup_size: 128
    .name:           _ZL25flash_attn_mask_to_KV_maxILi2EEvPK7__half2Piiii
    .private_segment_fixed_size: 0
    .sgpr_count:     18
    .sgpr_spill_count: 0
    .symbol:         _ZL25flash_attn_mask_to_KV_maxILi2EEvPK7__half2Piiii.kd
    .uniform_work_group_size: 1
    .uses_dynamic_stack: false
    .vgpr_count:     7
    .vgpr_spill_count: 0
    .wavefront_size: 32
    .workgroup_processor_mode: 1
  - .args:
      - .address_space:  global
        .offset:         0
        .size:           8
        .value_kind:     global_buffer
      - .address_space:  global
        .offset:         8
        .size:           8
        .value_kind:     global_buffer
      - .offset:         16
        .size:           4
        .value_kind:     by_value
      - .offset:         20
        .size:           4
        .value_kind:     by_value
      - .offset:         24
        .size:           4
        .value_kind:     by_value
      - .offset:         28
        .size:           4
        .value_kind:     by_value
      - .offset:         32
        .size:           4
        .value_kind:     by_value
      - .offset:         36
        .size:           4
        .value_kind:     by_value
      - .offset:         40
        .size:           12
        .value_kind:     by_value
      - .offset:         52
        .size:           12
        .value_kind:     by_value
      - .offset:         64
        .size:           12
        .value_kind:     by_value
    .group_segment_fixed_size: 0
    .kernarg_segment_align: 8
    .kernarg_segment_size: 76
    .language:       OpenCL C
    .language_version:
      - 2
      - 0
    .max_flat_workgroup_size: 64
    .name:           _ZL33flash_attn_stream_k_fixup_uniformILi64ELi2ELi1EEvPfPK15HIP_vector_typeIfLj2EEiiiiiiS1_IjLj3EES5_S5_
    .private_segment_fixed_size: 0
    .sgpr_count:     22
    .sgpr_spill_count: 0
    .symbol:         _ZL33flash_attn_stream_k_fixup_uniformILi64ELi2ELi1EEvPfPK15HIP_vector_typeIfLj2EEiiiiiiS1_IjLj3EES5_S5_.kd
    .uniform_work_group_size: 1
    .uses_dynamic_stack: false
    .vgpr_count:     15
    .vgpr_spill_count: 0
    .wavefront_size: 32
    .workgroup_processor_mode: 1
  - .args:
      - .address_space:  global
        .offset:         0
        .size:           8
        .value_kind:     global_buffer
      - .address_space:  global
        .offset:         8
        .size:           8
        .value_kind:     global_buffer
      - .offset:         16
        .size:           4
        .value_kind:     by_value
      - .offset:         20
        .size:           4
        .value_kind:     by_value
      - .offset:         24
        .size:           4
        .value_kind:     by_value
      - .offset:         28
        .size:           4
        .value_kind:     by_value
      - .offset:         32
        .size:           12
        .value_kind:     by_value
      - .offset:         44
        .size:           12
        .value_kind:     by_value
      - .offset:         56
        .size:           12
        .value_kind:     by_value
      - .offset:         68
        .size:           12
        .value_kind:     by_value
      - .offset:         80
        .size:           4
        .value_kind:     hidden_block_count_x
      - .offset:         84
        .size:           4
        .value_kind:     hidden_block_count_y
      - .offset:         88
        .size:           4
        .value_kind:     hidden_block_count_z
      - .offset:         92
        .size:           2
        .value_kind:     hidden_group_size_x
      - .offset:         94
        .size:           2
        .value_kind:     hidden_group_size_y
      - .offset:         96
        .size:           2
        .value_kind:     hidden_group_size_z
      - .offset:         98
        .size:           2
        .value_kind:     hidden_remainder_x
      - .offset:         100
        .size:           2
        .value_kind:     hidden_remainder_y
      - .offset:         102
        .size:           2
        .value_kind:     hidden_remainder_z
      - .offset:         120
        .size:           8
        .value_kind:     hidden_global_offset_x
      - .offset:         128
        .size:           8
        .value_kind:     hidden_global_offset_y
      - .offset:         136
        .size:           8
        .value_kind:     hidden_global_offset_z
      - .offset:         144
        .size:           2
        .value_kind:     hidden_grid_dims
    .group_segment_fixed_size: 0
    .kernarg_segment_align: 8
    .kernarg_segment_size: 336
    .language:       OpenCL C
    .language_version:
      - 2
      - 0
    .max_flat_workgroup_size: 64
    .name:           _ZL33flash_attn_stream_k_fixup_generalILi64ELi2ELi1EEvPfPK15HIP_vector_typeIfLj2EEiiiiS1_IjLj3EES5_S5_S5_
    .private_segment_fixed_size: 0
    .sgpr_count:     34
    .sgpr_spill_count: 0
    .symbol:         _ZL33flash_attn_stream_k_fixup_generalILi64ELi2ELi1EEvPfPK15HIP_vector_typeIfLj2EEiiiiS1_IjLj3EES5_S5_S5_.kd
    .uniform_work_group_size: 1
    .uses_dynamic_stack: false
    .vgpr_count:     19
    .vgpr_spill_count: 0
    .wavefront_size: 32
    .workgroup_processor_mode: 1
  - .args:
      - .address_space:  global
        .offset:         0
        .size:           8
        .value_kind:     global_buffer
      - .address_space:  global
        .offset:         8
        .size:           8
        .value_kind:     global_buffer
      - .address_space:  global
        .offset:         16
        .size:           8
        .value_kind:     global_buffer
      - .address_space:  global
        .offset:         24
        .size:           8
        .value_kind:     global_buffer
      - .address_space:  global
        .offset:         32
        .size:           8
        .value_kind:     global_buffer
      - .address_space:  global
        .offset:         40
        .size:           8
        .value_kind:     global_buffer
      - .address_space:  global
        .offset:         48
        .size:           8
        .value_kind:     global_buffer
      - .address_space:  global
        .offset:         56
        .size:           8
        .value_kind:     global_buffer
      - .offset:         64
        .size:           4
        .value_kind:     by_value
      - .offset:         68
        .size:           4
        .value_kind:     by_value
      - .offset:         72
        .size:           4
        .value_kind:     by_value
      - .offset:         76
        .size:           4
        .value_kind:     by_value
      - .offset:         80
        .size:           4
        .value_kind:     by_value
      - .offset:         84
        .size:           4
        .value_kind:     by_value
      - .offset:         88
        .size:           4
        .value_kind:     by_value
      - .offset:         92
        .size:           12
        .value_kind:     by_value
      - .offset:         104
        .size:           4
        .value_kind:     by_value
      - .offset:         108
        .size:           4
        .value_kind:     by_value
      - .offset:         112
        .size:           4
        .value_kind:     by_value
      - .offset:         116
        .size:           4
        .value_kind:     by_value
      - .offset:         120
        .size:           4
        .value_kind:     by_value
      - .offset:         124
        .size:           4
        .value_kind:     by_value
      - .offset:         128
        .size:           4
        .value_kind:     by_value
      - .offset:         132
        .size:           4
        .value_kind:     by_value
      - .offset:         136
        .size:           4
        .value_kind:     by_value
      - .offset:         140
        .size:           4
        .value_kind:     by_value
      - .offset:         144
        .size:           4
        .value_kind:     by_value
      - .offset:         152
        .size:           8
        .value_kind:     by_value
      - .offset:         160
        .size:           4
        .value_kind:     by_value
      - .offset:         164
        .size:           4
        .value_kind:     by_value
      - .offset:         168
        .size:           8
        .value_kind:     by_value
      - .offset:         176
        .size:           4
        .value_kind:     by_value
      - .offset:         180
        .size:           4
        .value_kind:     by_value
      - .offset:         184
        .size:           4
        .value_kind:     by_value
      - .offset:         188
        .size:           4
        .value_kind:     by_value
      - .offset:         192
        .size:           4
        .value_kind:     by_value
      - .offset:         200
        .size:           8
        .value_kind:     by_value
      - .offset:         208
        .size:           4
        .value_kind:     hidden_block_count_x
      - .offset:         212
        .size:           4
        .value_kind:     hidden_block_count_y
      - .offset:         216
        .size:           4
        .value_kind:     hidden_block_count_z
      - .offset:         220
        .size:           2
        .value_kind:     hidden_group_size_x
      - .offset:         222
        .size:           2
        .value_kind:     hidden_group_size_y
      - .offset:         224
        .size:           2
        .value_kind:     hidden_group_size_z
      - .offset:         226
        .size:           2
        .value_kind:     hidden_remainder_x
      - .offset:         228
        .size:           2
        .value_kind:     hidden_remainder_y
      - .offset:         230
        .size:           2
        .value_kind:     hidden_remainder_z
      - .offset:         248
        .size:           8
        .value_kind:     hidden_global_offset_x
      - .offset:         256
        .size:           8
        .value_kind:     hidden_global_offset_y
      - .offset:         264
        .size:           8
        .value_kind:     hidden_global_offset_z
      - .offset:         272
        .size:           2
        .value_kind:     hidden_grid_dims
      - .offset:         288
        .size:           8
        .value_kind:     hidden_hostcall_buffer
    .group_segment_fixed_size: 0
    .kernarg_segment_align: 8
    .kernarg_segment_size: 464
    .language:       OpenCL C
    .language_version:
      - 2
      - 0
    .max_flat_workgroup_size: 128
    .name:           _ZL18flash_attn_ext_vecILi64ELi2EL9ggml_type30ELS0_1ELb1EEvPKcS2_S2_S2_S2_PKiPfP15HIP_vector_typeIfLj2EEffffjfiS6_IjLj3EEiiiiiiiiiiiliiliiiiil
    .private_segment_fixed_size: 16
    .sgpr_count:     36
    .sgpr_spill_count: 0
    .symbol:         _ZL18flash_attn_ext_vecILi64ELi2EL9ggml_type30ELS0_1ELb1EEvPKcS2_S2_S2_S2_PKiPfP15HIP_vector_typeIfLj2EEffffjfiS6_IjLj3EEiiiiiiiiiiiliiliiiiil.kd
    .uniform_work_group_size: 1
    .uses_dynamic_stack: false
    .vgpr_count:     37
    .vgpr_spill_count: 0
    .wavefront_size: 32
    .workgroup_processor_mode: 1
  - .args:
      - .address_space:  global
        .offset:         0
        .size:           8
        .value_kind:     global_buffer
      - .address_space:  global
        .offset:         8
        .size:           8
        .value_kind:     global_buffer
      - .address_space:  global
        .offset:         16
        .size:           8
        .value_kind:     global_buffer
      - .address_space:  global
        .offset:         24
        .size:           8
        .value_kind:     global_buffer
      - .address_space:  global
        .offset:         32
        .size:           8
        .value_kind:     global_buffer
      - .address_space:  global
        .offset:         40
        .size:           8
        .value_kind:     global_buffer
      - .address_space:  global
        .offset:         48
        .size:           8
        .value_kind:     global_buffer
      - .address_space:  global
        .offset:         56
        .size:           8
        .value_kind:     global_buffer
      - .offset:         64
        .size:           4
        .value_kind:     by_value
      - .offset:         68
        .size:           4
        .value_kind:     by_value
      - .offset:         72
        .size:           4
        .value_kind:     by_value
      - .offset:         76
        .size:           4
        .value_kind:     by_value
      - .offset:         80
        .size:           4
        .value_kind:     by_value
      - .offset:         84
        .size:           4
        .value_kind:     by_value
      - .offset:         88
        .size:           4
        .value_kind:     by_value
      - .offset:         92
        .size:           12
        .value_kind:     by_value
      - .offset:         104
        .size:           4
        .value_kind:     by_value
      - .offset:         108
        .size:           4
        .value_kind:     by_value
      - .offset:         112
        .size:           4
        .value_kind:     by_value
      - .offset:         116
        .size:           4
        .value_kind:     by_value
      - .offset:         120
        .size:           4
        .value_kind:     by_value
      - .offset:         124
        .size:           4
        .value_kind:     by_value
      - .offset:         128
        .size:           4
        .value_kind:     by_value
      - .offset:         132
        .size:           4
        .value_kind:     by_value
      - .offset:         136
        .size:           4
        .value_kind:     by_value
      - .offset:         140
        .size:           4
        .value_kind:     by_value
      - .offset:         144
        .size:           4
        .value_kind:     by_value
      - .offset:         152
        .size:           8
        .value_kind:     by_value
      - .offset:         160
        .size:           4
        .value_kind:     by_value
      - .offset:         164
        .size:           4
        .value_kind:     by_value
      - .offset:         168
        .size:           8
        .value_kind:     by_value
      - .offset:         176
        .size:           4
        .value_kind:     by_value
      - .offset:         180
        .size:           4
        .value_kind:     by_value
      - .offset:         184
        .size:           4
        .value_kind:     by_value
      - .offset:         188
        .size:           4
        .value_kind:     by_value
      - .offset:         192
        .size:           4
        .value_kind:     by_value
      - .offset:         200
        .size:           8
        .value_kind:     by_value
      - .offset:         208
        .size:           4
        .value_kind:     hidden_block_count_x
      - .offset:         212
        .size:           4
        .value_kind:     hidden_block_count_y
      - .offset:         216
        .size:           4
        .value_kind:     hidden_block_count_z
      - .offset:         220
        .size:           2
        .value_kind:     hidden_group_size_x
      - .offset:         222
        .size:           2
        .value_kind:     hidden_group_size_y
      - .offset:         224
        .size:           2
        .value_kind:     hidden_group_size_z
      - .offset:         226
        .size:           2
        .value_kind:     hidden_remainder_x
      - .offset:         228
        .size:           2
        .value_kind:     hidden_remainder_y
      - .offset:         230
        .size:           2
        .value_kind:     hidden_remainder_z
      - .offset:         248
        .size:           8
        .value_kind:     hidden_global_offset_x
      - .offset:         256
        .size:           8
        .value_kind:     hidden_global_offset_y
      - .offset:         264
        .size:           8
        .value_kind:     hidden_global_offset_z
      - .offset:         272
        .size:           2
        .value_kind:     hidden_grid_dims
    .group_segment_fixed_size: 4352
    .kernarg_segment_align: 8
    .kernarg_segment_size: 464
    .language:       OpenCL C
    .language_version:
      - 2
      - 0
    .max_flat_workgroup_size: 128
    .name:           _ZL18flash_attn_ext_vecILi128ELi1EL9ggml_type30ELS0_1ELb0EEvPKcS2_S2_S2_S2_PKiPfP15HIP_vector_typeIfLj2EEffffjfiS6_IjLj3EEiiiiiiiiiiiliiliiiiil
    .private_segment_fixed_size: 0
    .sgpr_count:     56
    .sgpr_spill_count: 0
    .symbol:         _ZL18flash_attn_ext_vecILi128ELi1EL9ggml_type30ELS0_1ELb0EEvPKcS2_S2_S2_S2_PKiPfP15HIP_vector_typeIfLj2EEffffjfiS6_IjLj3EEiiiiiiiiiiiliiliiiiil.kd
    .uniform_work_group_size: 1
    .uses_dynamic_stack: false
    .vgpr_count:     146
    .vgpr_spill_count: 0
    .wavefront_size: 32
    .workgroup_processor_mode: 1
  - .args:
      - .address_space:  global
        .offset:         0
        .size:           8
        .value_kind:     global_buffer
      - .address_space:  global
        .offset:         8
        .size:           8
        .value_kind:     global_buffer
      - .offset:         16
        .size:           4
        .value_kind:     by_value
      - .offset:         20
        .size:           4
        .value_kind:     by_value
      - .offset:         24
        .size:           4
        .value_kind:     by_value
      - .offset:         28
        .size:           4
        .value_kind:     by_value
      - .offset:         32
        .size:           4
        .value_kind:     by_value
      - .offset:         36
        .size:           4
        .value_kind:     by_value
      - .offset:         40
        .size:           12
        .value_kind:     by_value
      - .offset:         52
        .size:           12
        .value_kind:     by_value
      - .offset:         64
        .size:           12
        .value_kind:     by_value
    .group_segment_fixed_size: 0
    .kernarg_segment_align: 8
    .kernarg_segment_size: 76
    .language:       OpenCL C
    .language_version:
      - 2
      - 0
    .max_flat_workgroup_size: 128
    .name:           _ZL33flash_attn_stream_k_fixup_uniformILi128ELi1ELi1EEvPfPK15HIP_vector_typeIfLj2EEiiiiiiS1_IjLj3EES5_S5_
    .private_segment_fixed_size: 0
    .sgpr_count:     22
    .sgpr_spill_count: 0
    .symbol:         _ZL33flash_attn_stream_k_fixup_uniformILi128ELi1ELi1EEvPfPK15HIP_vector_typeIfLj2EEiiiiiiS1_IjLj3EES5_S5_.kd
    .uniform_work_group_size: 1
    .uses_dynamic_stack: false
    .vgpr_count:     15
    .vgpr_spill_count: 0
    .wavefront_size: 32
    .workgroup_processor_mode: 1
  - .args:
      - .address_space:  global
        .offset:         0
        .size:           8
        .value_kind:     global_buffer
      - .address_space:  global
        .offset:         8
        .size:           8
        .value_kind:     global_buffer
      - .offset:         16
        .size:           4
        .value_kind:     by_value
      - .offset:         20
        .size:           4
        .value_kind:     by_value
      - .offset:         24
        .size:           4
        .value_kind:     by_value
      - .offset:         28
        .size:           4
        .value_kind:     by_value
      - .offset:         32
        .size:           12
        .value_kind:     by_value
      - .offset:         44
        .size:           12
        .value_kind:     by_value
      - .offset:         56
        .size:           12
        .value_kind:     by_value
      - .offset:         68
        .size:           12
        .value_kind:     by_value
      - .offset:         80
        .size:           4
        .value_kind:     hidden_block_count_x
      - .offset:         84
        .size:           4
        .value_kind:     hidden_block_count_y
      - .offset:         88
        .size:           4
        .value_kind:     hidden_block_count_z
      - .offset:         92
        .size:           2
        .value_kind:     hidden_group_size_x
      - .offset:         94
        .size:           2
        .value_kind:     hidden_group_size_y
      - .offset:         96
        .size:           2
        .value_kind:     hidden_group_size_z
      - .offset:         98
        .size:           2
        .value_kind:     hidden_remainder_x
      - .offset:         100
        .size:           2
        .value_kind:     hidden_remainder_y
      - .offset:         102
        .size:           2
        .value_kind:     hidden_remainder_z
      - .offset:         120
        .size:           8
        .value_kind:     hidden_global_offset_x
      - .offset:         128
        .size:           8
        .value_kind:     hidden_global_offset_y
      - .offset:         136
        .size:           8
        .value_kind:     hidden_global_offset_z
      - .offset:         144
        .size:           2
        .value_kind:     hidden_grid_dims
    .group_segment_fixed_size: 0
    .kernarg_segment_align: 8
    .kernarg_segment_size: 336
    .language:       OpenCL C
    .language_version:
      - 2
      - 0
    .max_flat_workgroup_size: 128
    .name:           _ZL33flash_attn_stream_k_fixup_generalILi128ELi1ELi1EEvPfPK15HIP_vector_typeIfLj2EEiiiiS1_IjLj3EES5_S5_S5_
    .private_segment_fixed_size: 0
    .sgpr_count:     34
    .sgpr_spill_count: 0
    .symbol:         _ZL33flash_attn_stream_k_fixup_generalILi128ELi1ELi1EEvPfPK15HIP_vector_typeIfLj2EEiiiiS1_IjLj3EES5_S5_S5_.kd
    .uniform_work_group_size: 1
    .uses_dynamic_stack: false
    .vgpr_count:     19
    .vgpr_spill_count: 0
    .wavefront_size: 32
    .workgroup_processor_mode: 1
  - .args:
      - .address_space:  global
        .offset:         0
        .size:           8
        .value_kind:     global_buffer
      - .address_space:  global
        .offset:         8
        .size:           8
        .value_kind:     global_buffer
      - .address_space:  global
        .offset:         16
        .size:           8
        .value_kind:     global_buffer
      - .offset:         24
        .size:           4
        .value_kind:     by_value
      - .offset:         32
        .size:           4
        .value_kind:     hidden_block_count_x
      - .offset:         36
        .size:           4
        .value_kind:     hidden_block_count_y
      - .offset:         40
        .size:           4
        .value_kind:     hidden_block_count_z
      - .offset:         44
        .size:           2
        .value_kind:     hidden_group_size_x
      - .offset:         46
        .size:           2
        .value_kind:     hidden_group_size_y
      - .offset:         48
        .size:           2
        .value_kind:     hidden_group_size_z
      - .offset:         50
        .size:           2
        .value_kind:     hidden_remainder_x
      - .offset:         52
        .size:           2
        .value_kind:     hidden_remainder_y
      - .offset:         54
        .size:           2
        .value_kind:     hidden_remainder_z
      - .offset:         72
        .size:           8
        .value_kind:     hidden_global_offset_x
      - .offset:         80
        .size:           8
        .value_kind:     hidden_global_offset_y
      - .offset:         88
        .size:           8
        .value_kind:     hidden_global_offset_z
      - .offset:         96
        .size:           2
        .value_kind:     hidden_grid_dims
      - .offset:         152
        .size:           4
        .value_kind:     hidden_dynamic_lds_size
    .group_segment_fixed_size: 0
    .kernarg_segment_align: 8
    .kernarg_segment_size: 288
    .language:       OpenCL C
    .language_version:
      - 2
      - 0
    .max_flat_workgroup_size: 128
    .name:           _ZL26flash_attn_combine_resultsILi128EEvPKfPK15HIP_vector_typeIfLj2EEPfi
    .private_segment_fixed_size: 0
    .sgpr_count:     18
    .sgpr_spill_count: 0
    .symbol:         _ZL26flash_attn_combine_resultsILi128EEvPKfPK15HIP_vector_typeIfLj2EEPfi.kd
    .uniform_work_group_size: 1
    .uses_dynamic_stack: false
    .vgpr_count:     55
    .vgpr_spill_count: 0
    .wavefront_size: 32
    .workgroup_processor_mode: 1
  - .args:
      - .address_space:  global
        .offset:         0
        .size:           8
        .value_kind:     global_buffer
      - .address_space:  global
        .offset:         8
        .size:           8
        .value_kind:     global_buffer
      - .address_space:  global
        .offset:         16
        .size:           8
        .value_kind:     global_buffer
      - .address_space:  global
        .offset:         24
        .size:           8
        .value_kind:     global_buffer
      - .address_space:  global
        .offset:         32
        .size:           8
        .value_kind:     global_buffer
      - .address_space:  global
        .offset:         40
        .size:           8
        .value_kind:     global_buffer
      - .address_space:  global
        .offset:         48
        .size:           8
        .value_kind:     global_buffer
      - .address_space:  global
        .offset:         56
        .size:           8
        .value_kind:     global_buffer
      - .offset:         64
        .size:           4
        .value_kind:     by_value
      - .offset:         68
        .size:           4
        .value_kind:     by_value
      - .offset:         72
        .size:           4
        .value_kind:     by_value
      - .offset:         76
        .size:           4
        .value_kind:     by_value
      - .offset:         80
        .size:           4
        .value_kind:     by_value
      - .offset:         84
        .size:           4
        .value_kind:     by_value
      - .offset:         88
        .size:           4
        .value_kind:     by_value
      - .offset:         92
        .size:           12
        .value_kind:     by_value
      - .offset:         104
        .size:           4
        .value_kind:     by_value
      - .offset:         108
        .size:           4
        .value_kind:     by_value
      - .offset:         112
        .size:           4
        .value_kind:     by_value
      - .offset:         116
        .size:           4
        .value_kind:     by_value
      - .offset:         120
        .size:           4
        .value_kind:     by_value
      - .offset:         124
        .size:           4
        .value_kind:     by_value
      - .offset:         128
        .size:           4
        .value_kind:     by_value
      - .offset:         132
        .size:           4
        .value_kind:     by_value
      - .offset:         136
        .size:           4
        .value_kind:     by_value
      - .offset:         140
        .size:           4
        .value_kind:     by_value
      - .offset:         144
        .size:           4
        .value_kind:     by_value
      - .offset:         152
        .size:           8
        .value_kind:     by_value
      - .offset:         160
        .size:           4
        .value_kind:     by_value
      - .offset:         164
        .size:           4
        .value_kind:     by_value
      - .offset:         168
        .size:           8
        .value_kind:     by_value
      - .offset:         176
        .size:           4
        .value_kind:     by_value
      - .offset:         180
        .size:           4
        .value_kind:     by_value
      - .offset:         184
        .size:           4
        .value_kind:     by_value
      - .offset:         188
        .size:           4
        .value_kind:     by_value
      - .offset:         192
        .size:           4
        .value_kind:     by_value
      - .offset:         200
        .size:           8
        .value_kind:     by_value
      - .offset:         208
        .size:           4
        .value_kind:     hidden_block_count_x
      - .offset:         212
        .size:           4
        .value_kind:     hidden_block_count_y
      - .offset:         216
        .size:           4
        .value_kind:     hidden_block_count_z
      - .offset:         220
        .size:           2
        .value_kind:     hidden_group_size_x
      - .offset:         222
        .size:           2
        .value_kind:     hidden_group_size_y
      - .offset:         224
        .size:           2
        .value_kind:     hidden_group_size_z
      - .offset:         226
        .size:           2
        .value_kind:     hidden_remainder_x
      - .offset:         228
        .size:           2
        .value_kind:     hidden_remainder_y
      - .offset:         230
        .size:           2
        .value_kind:     hidden_remainder_z
      - .offset:         248
        .size:           8
        .value_kind:     hidden_global_offset_x
      - .offset:         256
        .size:           8
        .value_kind:     hidden_global_offset_y
      - .offset:         264
        .size:           8
        .value_kind:     hidden_global_offset_z
      - .offset:         272
        .size:           2
        .value_kind:     hidden_grid_dims
    .group_segment_fixed_size: 4352
    .kernarg_segment_align: 8
    .kernarg_segment_size: 464
    .language:       OpenCL C
    .language_version:
      - 2
      - 0
    .max_flat_workgroup_size: 128
    .name:           _ZL18flash_attn_ext_vecILi128ELi1EL9ggml_type30ELS0_1ELb1EEvPKcS2_S2_S2_S2_PKiPfP15HIP_vector_typeIfLj2EEffffjfiS6_IjLj3EEiiiiiiiiiiiliiliiiiil
    .private_segment_fixed_size: 0
    .sgpr_count:     57
    .sgpr_spill_count: 0
    .symbol:         _ZL18flash_attn_ext_vecILi128ELi1EL9ggml_type30ELS0_1ELb1EEvPKcS2_S2_S2_S2_PKiPfP15HIP_vector_typeIfLj2EEffffjfiS6_IjLj3EEiiiiiiiiiiiliiliiiiil.kd
    .uniform_work_group_size: 1
    .uses_dynamic_stack: false
    .vgpr_count:     146
    .vgpr_spill_count: 0
    .wavefront_size: 32
    .workgroup_processor_mode: 1
  - .args:
      - .address_space:  global
        .offset:         0
        .size:           8
        .value_kind:     global_buffer
      - .address_space:  global
        .offset:         8
        .size:           8
        .value_kind:     global_buffer
      - .address_space:  global
        .offset:         16
        .size:           8
        .value_kind:     global_buffer
      - .address_space:  global
        .offset:         24
        .size:           8
        .value_kind:     global_buffer
      - .address_space:  global
        .offset:         32
        .size:           8
        .value_kind:     global_buffer
      - .address_space:  global
        .offset:         40
        .size:           8
        .value_kind:     global_buffer
      - .address_space:  global
        .offset:         48
        .size:           8
        .value_kind:     global_buffer
      - .address_space:  global
        .offset:         56
        .size:           8
        .value_kind:     global_buffer
      - .offset:         64
        .size:           4
        .value_kind:     by_value
      - .offset:         68
        .size:           4
        .value_kind:     by_value
      - .offset:         72
        .size:           4
        .value_kind:     by_value
      - .offset:         76
        .size:           4
        .value_kind:     by_value
      - .offset:         80
        .size:           4
        .value_kind:     by_value
      - .offset:         84
        .size:           4
        .value_kind:     by_value
      - .offset:         88
        .size:           4
        .value_kind:     by_value
      - .offset:         92
        .size:           12
        .value_kind:     by_value
      - .offset:         104
        .size:           4
        .value_kind:     by_value
      - .offset:         108
        .size:           4
        .value_kind:     by_value
      - .offset:         112
        .size:           4
        .value_kind:     by_value
      - .offset:         116
        .size:           4
        .value_kind:     by_value
      - .offset:         120
        .size:           4
        .value_kind:     by_value
      - .offset:         124
        .size:           4
        .value_kind:     by_value
      - .offset:         128
        .size:           4
        .value_kind:     by_value
      - .offset:         132
        .size:           4
        .value_kind:     by_value
      - .offset:         136
        .size:           4
        .value_kind:     by_value
      - .offset:         140
        .size:           4
        .value_kind:     by_value
      - .offset:         144
        .size:           4
        .value_kind:     by_value
      - .offset:         152
        .size:           8
        .value_kind:     by_value
      - .offset:         160
        .size:           4
        .value_kind:     by_value
      - .offset:         164
        .size:           4
        .value_kind:     by_value
      - .offset:         168
        .size:           8
        .value_kind:     by_value
      - .offset:         176
        .size:           4
        .value_kind:     by_value
      - .offset:         180
        .size:           4
        .value_kind:     by_value
      - .offset:         184
        .size:           4
        .value_kind:     by_value
      - .offset:         188
        .size:           4
        .value_kind:     by_value
      - .offset:         192
        .size:           4
        .value_kind:     by_value
      - .offset:         200
        .size:           8
        .value_kind:     by_value
      - .offset:         208
        .size:           4
        .value_kind:     hidden_block_count_x
      - .offset:         212
        .size:           4
        .value_kind:     hidden_block_count_y
      - .offset:         216
        .size:           4
        .value_kind:     hidden_block_count_z
      - .offset:         220
        .size:           2
        .value_kind:     hidden_group_size_x
      - .offset:         222
        .size:           2
        .value_kind:     hidden_group_size_y
      - .offset:         224
        .size:           2
        .value_kind:     hidden_group_size_z
      - .offset:         226
        .size:           2
        .value_kind:     hidden_remainder_x
      - .offset:         228
        .size:           2
        .value_kind:     hidden_remainder_y
      - .offset:         230
        .size:           2
        .value_kind:     hidden_remainder_z
      - .offset:         248
        .size:           8
        .value_kind:     hidden_global_offset_x
      - .offset:         256
        .size:           8
        .value_kind:     hidden_global_offset_y
      - .offset:         264
        .size:           8
        .value_kind:     hidden_global_offset_z
      - .offset:         272
        .size:           2
        .value_kind:     hidden_grid_dims
    .group_segment_fixed_size: 4608
    .kernarg_segment_align: 8
    .kernarg_segment_size: 464
    .language:       OpenCL C
    .language_version:
      - 2
      - 0
    .max_flat_workgroup_size: 128
    .name:           _ZL18flash_attn_ext_vecILi128ELi2EL9ggml_type30ELS0_1ELb0EEvPKcS2_S2_S2_S2_PKiPfP15HIP_vector_typeIfLj2EEffffjfiS6_IjLj3EEiiiiiiiiiiiliiliiiiil
    .private_segment_fixed_size: 80
    .sgpr_count:     54
    .sgpr_spill_count: 0
    .symbol:         _ZL18flash_attn_ext_vecILi128ELi2EL9ggml_type30ELS0_1ELb0EEvPKcS2_S2_S2_S2_PKiPfP15HIP_vector_typeIfLj2EEffffjfiS6_IjLj3EEiiiiiiiiiiiliiliiiiil.kd
    .uniform_work_group_size: 1
    .uses_dynamic_stack: false
    .vgpr_count:     199
    .vgpr_spill_count: 0
    .wavefront_size: 32
    .workgroup_processor_mode: 1
  - .args:
      - .address_space:  global
        .offset:         0
        .size:           8
        .value_kind:     global_buffer
      - .address_space:  global
        .offset:         8
        .size:           8
        .value_kind:     global_buffer
      - .offset:         16
        .size:           4
        .value_kind:     by_value
      - .offset:         20
        .size:           4
        .value_kind:     by_value
      - .offset:         24
        .size:           4
        .value_kind:     by_value
      - .offset:         28
        .size:           4
        .value_kind:     by_value
      - .offset:         32
        .size:           4
        .value_kind:     by_value
      - .offset:         36
        .size:           4
        .value_kind:     by_value
      - .offset:         40
        .size:           12
        .value_kind:     by_value
      - .offset:         52
        .size:           12
        .value_kind:     by_value
      - .offset:         64
        .size:           12
        .value_kind:     by_value
    .group_segment_fixed_size: 0
    .kernarg_segment_align: 8
    .kernarg_segment_size: 76
    .language:       OpenCL C
    .language_version:
      - 2
      - 0
    .max_flat_workgroup_size: 128
    .name:           _ZL33flash_attn_stream_k_fixup_uniformILi128ELi2ELi1EEvPfPK15HIP_vector_typeIfLj2EEiiiiiiS1_IjLj3EES5_S5_
    .private_segment_fixed_size: 0
    .sgpr_count:     22
    .sgpr_spill_count: 0
    .symbol:         _ZL33flash_attn_stream_k_fixup_uniformILi128ELi2ELi1EEvPfPK15HIP_vector_typeIfLj2EEiiiiiiS1_IjLj3EES5_S5_.kd
    .uniform_work_group_size: 1
    .uses_dynamic_stack: false
    .vgpr_count:     15
    .vgpr_spill_count: 0
    .wavefront_size: 32
    .workgroup_processor_mode: 1
  - .args:
      - .address_space:  global
        .offset:         0
        .size:           8
        .value_kind:     global_buffer
      - .address_space:  global
        .offset:         8
        .size:           8
        .value_kind:     global_buffer
      - .offset:         16
        .size:           4
        .value_kind:     by_value
      - .offset:         20
        .size:           4
        .value_kind:     by_value
      - .offset:         24
        .size:           4
        .value_kind:     by_value
      - .offset:         28
        .size:           4
        .value_kind:     by_value
      - .offset:         32
        .size:           12
        .value_kind:     by_value
      - .offset:         44
        .size:           12
        .value_kind:     by_value
      - .offset:         56
        .size:           12
        .value_kind:     by_value
      - .offset:         68
        .size:           12
        .value_kind:     by_value
      - .offset:         80
        .size:           4
        .value_kind:     hidden_block_count_x
      - .offset:         84
        .size:           4
        .value_kind:     hidden_block_count_y
      - .offset:         88
        .size:           4
        .value_kind:     hidden_block_count_z
      - .offset:         92
        .size:           2
        .value_kind:     hidden_group_size_x
      - .offset:         94
        .size:           2
        .value_kind:     hidden_group_size_y
      - .offset:         96
        .size:           2
        .value_kind:     hidden_group_size_z
      - .offset:         98
        .size:           2
        .value_kind:     hidden_remainder_x
      - .offset:         100
        .size:           2
        .value_kind:     hidden_remainder_y
      - .offset:         102
        .size:           2
        .value_kind:     hidden_remainder_z
      - .offset:         120
        .size:           8
        .value_kind:     hidden_global_offset_x
      - .offset:         128
        .size:           8
        .value_kind:     hidden_global_offset_y
      - .offset:         136
        .size:           8
        .value_kind:     hidden_global_offset_z
      - .offset:         144
        .size:           2
        .value_kind:     hidden_grid_dims
    .group_segment_fixed_size: 0
    .kernarg_segment_align: 8
    .kernarg_segment_size: 336
    .language:       OpenCL C
    .language_version:
      - 2
      - 0
    .max_flat_workgroup_size: 128
    .name:           _ZL33flash_attn_stream_k_fixup_generalILi128ELi2ELi1EEvPfPK15HIP_vector_typeIfLj2EEiiiiS1_IjLj3EES5_S5_S5_
    .private_segment_fixed_size: 0
    .sgpr_count:     34
    .sgpr_spill_count: 0
    .symbol:         _ZL33flash_attn_stream_k_fixup_generalILi128ELi2ELi1EEvPfPK15HIP_vector_typeIfLj2EEiiiiS1_IjLj3EES5_S5_S5_.kd
    .uniform_work_group_size: 1
    .uses_dynamic_stack: false
    .vgpr_count:     19
    .vgpr_spill_count: 0
    .wavefront_size: 32
    .workgroup_processor_mode: 1
  - .args:
      - .address_space:  global
        .offset:         0
        .size:           8
        .value_kind:     global_buffer
      - .address_space:  global
        .offset:         8
        .size:           8
        .value_kind:     global_buffer
      - .address_space:  global
        .offset:         16
        .size:           8
        .value_kind:     global_buffer
      - .address_space:  global
        .offset:         24
        .size:           8
        .value_kind:     global_buffer
      - .address_space:  global
        .offset:         32
        .size:           8
        .value_kind:     global_buffer
      - .address_space:  global
        .offset:         40
        .size:           8
        .value_kind:     global_buffer
      - .address_space:  global
        .offset:         48
        .size:           8
        .value_kind:     global_buffer
      - .address_space:  global
        .offset:         56
        .size:           8
        .value_kind:     global_buffer
      - .offset:         64
        .size:           4
        .value_kind:     by_value
      - .offset:         68
        .size:           4
        .value_kind:     by_value
      - .offset:         72
        .size:           4
        .value_kind:     by_value
      - .offset:         76
        .size:           4
        .value_kind:     by_value
      - .offset:         80
        .size:           4
        .value_kind:     by_value
      - .offset:         84
        .size:           4
        .value_kind:     by_value
      - .offset:         88
        .size:           4
        .value_kind:     by_value
      - .offset:         92
        .size:           12
        .value_kind:     by_value
      - .offset:         104
        .size:           4
        .value_kind:     by_value
      - .offset:         108
        .size:           4
        .value_kind:     by_value
      - .offset:         112
        .size:           4
        .value_kind:     by_value
      - .offset:         116
        .size:           4
        .value_kind:     by_value
      - .offset:         120
        .size:           4
        .value_kind:     by_value
      - .offset:         124
        .size:           4
        .value_kind:     by_value
      - .offset:         128
        .size:           4
        .value_kind:     by_value
      - .offset:         132
        .size:           4
        .value_kind:     by_value
      - .offset:         136
        .size:           4
        .value_kind:     by_value
      - .offset:         140
        .size:           4
        .value_kind:     by_value
      - .offset:         144
        .size:           4
        .value_kind:     by_value
      - .offset:         152
        .size:           8
        .value_kind:     by_value
      - .offset:         160
        .size:           4
        .value_kind:     by_value
      - .offset:         164
        .size:           4
        .value_kind:     by_value
      - .offset:         168
        .size:           8
        .value_kind:     by_value
      - .offset:         176
        .size:           4
        .value_kind:     by_value
      - .offset:         180
        .size:           4
        .value_kind:     by_value
      - .offset:         184
        .size:           4
        .value_kind:     by_value
      - .offset:         188
        .size:           4
        .value_kind:     by_value
      - .offset:         192
        .size:           4
        .value_kind:     by_value
      - .offset:         200
        .size:           8
        .value_kind:     by_value
      - .offset:         208
        .size:           4
        .value_kind:     hidden_block_count_x
      - .offset:         212
        .size:           4
        .value_kind:     hidden_block_count_y
      - .offset:         216
        .size:           4
        .value_kind:     hidden_block_count_z
      - .offset:         220
        .size:           2
        .value_kind:     hidden_group_size_x
      - .offset:         222
        .size:           2
        .value_kind:     hidden_group_size_y
      - .offset:         224
        .size:           2
        .value_kind:     hidden_group_size_z
      - .offset:         226
        .size:           2
        .value_kind:     hidden_remainder_x
      - .offset:         228
        .size:           2
        .value_kind:     hidden_remainder_y
      - .offset:         230
        .size:           2
        .value_kind:     hidden_remainder_z
      - .offset:         248
        .size:           8
        .value_kind:     hidden_global_offset_x
      - .offset:         256
        .size:           8
        .value_kind:     hidden_global_offset_y
      - .offset:         264
        .size:           8
        .value_kind:     hidden_global_offset_z
      - .offset:         272
        .size:           2
        .value_kind:     hidden_grid_dims
    .group_segment_fixed_size: 4608
    .kernarg_segment_align: 8
    .kernarg_segment_size: 464
    .language:       OpenCL C
    .language_version:
      - 2
      - 0
    .max_flat_workgroup_size: 128
    .name:           _ZL18flash_attn_ext_vecILi128ELi2EL9ggml_type30ELS0_1ELb1EEvPKcS2_S2_S2_S2_PKiPfP15HIP_vector_typeIfLj2EEffffjfiS6_IjLj3EEiiiiiiiiiiiliiliiiiil
    .private_segment_fixed_size: 80
    .sgpr_count:     54
    .sgpr_spill_count: 0
    .symbol:         _ZL18flash_attn_ext_vecILi128ELi2EL9ggml_type30ELS0_1ELb1EEvPKcS2_S2_S2_S2_PKiPfP15HIP_vector_typeIfLj2EEffffjfiS6_IjLj3EEiiiiiiiiiiiliiliiiiil.kd
    .uniform_work_group_size: 1
    .uses_dynamic_stack: false
    .vgpr_count:     199
    .vgpr_spill_count: 0
    .wavefront_size: 32
    .workgroup_processor_mode: 1
  - .args:
      - .address_space:  global
        .offset:         0
        .size:           8
        .value_kind:     global_buffer
      - .address_space:  global
        .offset:         8
        .size:           8
        .value_kind:     global_buffer
      - .address_space:  global
        .offset:         16
        .size:           8
        .value_kind:     global_buffer
      - .address_space:  global
        .offset:         24
        .size:           8
        .value_kind:     global_buffer
      - .address_space:  global
        .offset:         32
        .size:           8
        .value_kind:     global_buffer
      - .address_space:  global
        .offset:         40
        .size:           8
        .value_kind:     global_buffer
      - .address_space:  global
        .offset:         48
        .size:           8
        .value_kind:     global_buffer
      - .address_space:  global
        .offset:         56
        .size:           8
        .value_kind:     global_buffer
      - .offset:         64
        .size:           4
        .value_kind:     by_value
      - .offset:         68
        .size:           4
        .value_kind:     by_value
      - .offset:         72
        .size:           4
        .value_kind:     by_value
      - .offset:         76
        .size:           4
        .value_kind:     by_value
      - .offset:         80
        .size:           4
        .value_kind:     by_value
      - .offset:         84
        .size:           4
        .value_kind:     by_value
      - .offset:         88
        .size:           4
        .value_kind:     by_value
      - .offset:         92
        .size:           12
        .value_kind:     by_value
      - .offset:         104
        .size:           4
        .value_kind:     by_value
      - .offset:         108
        .size:           4
        .value_kind:     by_value
      - .offset:         112
        .size:           4
        .value_kind:     by_value
      - .offset:         116
        .size:           4
        .value_kind:     by_value
      - .offset:         120
        .size:           4
        .value_kind:     by_value
      - .offset:         124
        .size:           4
        .value_kind:     by_value
      - .offset:         128
        .size:           4
        .value_kind:     by_value
      - .offset:         132
        .size:           4
        .value_kind:     by_value
      - .offset:         136
        .size:           4
        .value_kind:     by_value
      - .offset:         140
        .size:           4
        .value_kind:     by_value
      - .offset:         144
        .size:           4
        .value_kind:     by_value
      - .offset:         152
        .size:           8
        .value_kind:     by_value
      - .offset:         160
        .size:           4
        .value_kind:     by_value
      - .offset:         164
        .size:           4
        .value_kind:     by_value
      - .offset:         168
        .size:           8
        .value_kind:     by_value
      - .offset:         176
        .size:           4
        .value_kind:     by_value
      - .offset:         180
        .size:           4
        .value_kind:     by_value
      - .offset:         184
        .size:           4
        .value_kind:     by_value
      - .offset:         188
        .size:           4
        .value_kind:     by_value
      - .offset:         192
        .size:           4
        .value_kind:     by_value
      - .offset:         200
        .size:           8
        .value_kind:     by_value
      - .offset:         208
        .size:           4
        .value_kind:     hidden_block_count_x
      - .offset:         212
        .size:           4
        .value_kind:     hidden_block_count_y
      - .offset:         216
        .size:           4
        .value_kind:     hidden_block_count_z
      - .offset:         220
        .size:           2
        .value_kind:     hidden_group_size_x
      - .offset:         222
        .size:           2
        .value_kind:     hidden_group_size_y
      - .offset:         224
        .size:           2
        .value_kind:     hidden_group_size_z
      - .offset:         226
        .size:           2
        .value_kind:     hidden_remainder_x
      - .offset:         228
        .size:           2
        .value_kind:     hidden_remainder_y
      - .offset:         230
        .size:           2
        .value_kind:     hidden_remainder_z
      - .offset:         248
        .size:           8
        .value_kind:     hidden_global_offset_x
      - .offset:         256
        .size:           8
        .value_kind:     hidden_global_offset_y
      - .offset:         264
        .size:           8
        .value_kind:     hidden_global_offset_z
      - .offset:         272
        .size:           2
        .value_kind:     hidden_grid_dims
    .group_segment_fixed_size: 8448
    .kernarg_segment_align: 8
    .kernarg_segment_size: 464
    .language:       OpenCL C
    .language_version:
      - 2
      - 0
    .max_flat_workgroup_size: 128
    .name:           _ZL18flash_attn_ext_vecILi256ELi1EL9ggml_type30ELS0_1ELb0EEvPKcS2_S2_S2_S2_PKiPfP15HIP_vector_typeIfLj2EEffffjfiS6_IjLj3EEiiiiiiiiiiiliiliiiiil
    .private_segment_fixed_size: 0
    .sgpr_count:     46
    .sgpr_spill_count: 0
    .symbol:         _ZL18flash_attn_ext_vecILi256ELi1EL9ggml_type30ELS0_1ELb0EEvPKcS2_S2_S2_S2_PKiPfP15HIP_vector_typeIfLj2EEffffjfiS6_IjLj3EEiiiiiiiiiiiliiliiiiil.kd
    .uniform_work_group_size: 1
    .uses_dynamic_stack: false
    .vgpr_count:     240
    .vgpr_spill_count: 0
    .wavefront_size: 32
    .workgroup_processor_mode: 1
  - .args:
      - .address_space:  global
        .offset:         0
        .size:           8
        .value_kind:     global_buffer
      - .address_space:  global
        .offset:         8
        .size:           8
        .value_kind:     global_buffer
      - .offset:         16
        .size:           4
        .value_kind:     by_value
      - .offset:         20
        .size:           4
        .value_kind:     by_value
      - .offset:         24
        .size:           4
        .value_kind:     by_value
      - .offset:         28
        .size:           4
        .value_kind:     by_value
      - .offset:         32
        .size:           4
        .value_kind:     by_value
      - .offset:         36
        .size:           4
        .value_kind:     by_value
      - .offset:         40
        .size:           12
        .value_kind:     by_value
      - .offset:         52
        .size:           12
        .value_kind:     by_value
      - .offset:         64
        .size:           12
        .value_kind:     by_value
    .group_segment_fixed_size: 0
    .kernarg_segment_align: 8
    .kernarg_segment_size: 76
    .language:       OpenCL C
    .language_version:
      - 2
      - 0
    .max_flat_workgroup_size: 256
    .name:           _ZL33flash_attn_stream_k_fixup_uniformILi256ELi1ELi1EEvPfPK15HIP_vector_typeIfLj2EEiiiiiiS1_IjLj3EES5_S5_
    .private_segment_fixed_size: 0
    .sgpr_count:     22
    .sgpr_spill_count: 0
    .symbol:         _ZL33flash_attn_stream_k_fixup_uniformILi256ELi1ELi1EEvPfPK15HIP_vector_typeIfLj2EEiiiiiiS1_IjLj3EES5_S5_.kd
    .uniform_work_group_size: 1
    .uses_dynamic_stack: false
    .vgpr_count:     15
    .vgpr_spill_count: 0
    .wavefront_size: 32
    .workgroup_processor_mode: 1
  - .args:
      - .address_space:  global
        .offset:         0
        .size:           8
        .value_kind:     global_buffer
      - .address_space:  global
        .offset:         8
        .size:           8
        .value_kind:     global_buffer
      - .offset:         16
        .size:           4
        .value_kind:     by_value
      - .offset:         20
        .size:           4
        .value_kind:     by_value
      - .offset:         24
        .size:           4
        .value_kind:     by_value
      - .offset:         28
        .size:           4
        .value_kind:     by_value
      - .offset:         32
        .size:           12
        .value_kind:     by_value
      - .offset:         44
        .size:           12
        .value_kind:     by_value
      - .offset:         56
        .size:           12
        .value_kind:     by_value
      - .offset:         68
        .size:           12
        .value_kind:     by_value
      - .offset:         80
        .size:           4
        .value_kind:     hidden_block_count_x
      - .offset:         84
        .size:           4
        .value_kind:     hidden_block_count_y
      - .offset:         88
        .size:           4
        .value_kind:     hidden_block_count_z
      - .offset:         92
        .size:           2
        .value_kind:     hidden_group_size_x
      - .offset:         94
        .size:           2
        .value_kind:     hidden_group_size_y
      - .offset:         96
        .size:           2
        .value_kind:     hidden_group_size_z
      - .offset:         98
        .size:           2
        .value_kind:     hidden_remainder_x
      - .offset:         100
        .size:           2
        .value_kind:     hidden_remainder_y
      - .offset:         102
        .size:           2
        .value_kind:     hidden_remainder_z
      - .offset:         120
        .size:           8
        .value_kind:     hidden_global_offset_x
      - .offset:         128
        .size:           8
        .value_kind:     hidden_global_offset_y
      - .offset:         136
        .size:           8
        .value_kind:     hidden_global_offset_z
      - .offset:         144
        .size:           2
        .value_kind:     hidden_grid_dims
    .group_segment_fixed_size: 0
    .kernarg_segment_align: 8
    .kernarg_segment_size: 336
    .language:       OpenCL C
    .language_version:
      - 2
      - 0
    .max_flat_workgroup_size: 256
    .name:           _ZL33flash_attn_stream_k_fixup_generalILi256ELi1ELi1EEvPfPK15HIP_vector_typeIfLj2EEiiiiS1_IjLj3EES5_S5_S5_
    .private_segment_fixed_size: 0
    .sgpr_count:     34
    .sgpr_spill_count: 0
    .symbol:         _ZL33flash_attn_stream_k_fixup_generalILi256ELi1ELi1EEvPfPK15HIP_vector_typeIfLj2EEiiiiS1_IjLj3EES5_S5_S5_.kd
    .uniform_work_group_size: 1
    .uses_dynamic_stack: false
    .vgpr_count:     19
    .vgpr_spill_count: 0
    .wavefront_size: 32
    .workgroup_processor_mode: 1
  - .args:
      - .address_space:  global
        .offset:         0
        .size:           8
        .value_kind:     global_buffer
      - .address_space:  global
        .offset:         8
        .size:           8
        .value_kind:     global_buffer
      - .address_space:  global
        .offset:         16
        .size:           8
        .value_kind:     global_buffer
      - .offset:         24
        .size:           4
        .value_kind:     by_value
      - .offset:         32
        .size:           4
        .value_kind:     hidden_block_count_x
      - .offset:         36
        .size:           4
        .value_kind:     hidden_block_count_y
      - .offset:         40
        .size:           4
        .value_kind:     hidden_block_count_z
      - .offset:         44
        .size:           2
        .value_kind:     hidden_group_size_x
      - .offset:         46
        .size:           2
        .value_kind:     hidden_group_size_y
      - .offset:         48
        .size:           2
        .value_kind:     hidden_group_size_z
      - .offset:         50
        .size:           2
        .value_kind:     hidden_remainder_x
      - .offset:         52
        .size:           2
        .value_kind:     hidden_remainder_y
      - .offset:         54
        .size:           2
        .value_kind:     hidden_remainder_z
      - .offset:         72
        .size:           8
        .value_kind:     hidden_global_offset_x
      - .offset:         80
        .size:           8
        .value_kind:     hidden_global_offset_y
      - .offset:         88
        .size:           8
        .value_kind:     hidden_global_offset_z
      - .offset:         96
        .size:           2
        .value_kind:     hidden_grid_dims
      - .offset:         152
        .size:           4
        .value_kind:     hidden_dynamic_lds_size
    .group_segment_fixed_size: 0
    .kernarg_segment_align: 8
    .kernarg_segment_size: 288
    .language:       OpenCL C
    .language_version:
      - 2
      - 0
    .max_flat_workgroup_size: 256
    .name:           _ZL26flash_attn_combine_resultsILi256EEvPKfPK15HIP_vector_typeIfLj2EEPfi
    .private_segment_fixed_size: 0
    .sgpr_count:     18
    .sgpr_spill_count: 0
    .symbol:         _ZL26flash_attn_combine_resultsILi256EEvPKfPK15HIP_vector_typeIfLj2EEPfi.kd
    .uniform_work_group_size: 1
    .uses_dynamic_stack: false
    .vgpr_count:     55
    .vgpr_spill_count: 0
    .wavefront_size: 32
    .workgroup_processor_mode: 1
  - .args:
      - .address_space:  global
        .offset:         0
        .size:           8
        .value_kind:     global_buffer
      - .address_space:  global
        .offset:         8
        .size:           8
        .value_kind:     global_buffer
      - .address_space:  global
        .offset:         16
        .size:           8
        .value_kind:     global_buffer
      - .address_space:  global
        .offset:         24
        .size:           8
        .value_kind:     global_buffer
      - .address_space:  global
        .offset:         32
        .size:           8
        .value_kind:     global_buffer
      - .address_space:  global
        .offset:         40
        .size:           8
        .value_kind:     global_buffer
      - .address_space:  global
        .offset:         48
        .size:           8
        .value_kind:     global_buffer
      - .address_space:  global
        .offset:         56
        .size:           8
        .value_kind:     global_buffer
      - .offset:         64
        .size:           4
        .value_kind:     by_value
      - .offset:         68
        .size:           4
        .value_kind:     by_value
      - .offset:         72
        .size:           4
        .value_kind:     by_value
      - .offset:         76
        .size:           4
        .value_kind:     by_value
      - .offset:         80
        .size:           4
        .value_kind:     by_value
      - .offset:         84
        .size:           4
        .value_kind:     by_value
      - .offset:         88
        .size:           4
        .value_kind:     by_value
      - .offset:         92
        .size:           12
        .value_kind:     by_value
      - .offset:         104
        .size:           4
        .value_kind:     by_value
      - .offset:         108
        .size:           4
        .value_kind:     by_value
      - .offset:         112
        .size:           4
        .value_kind:     by_value
      - .offset:         116
        .size:           4
        .value_kind:     by_value
      - .offset:         120
        .size:           4
        .value_kind:     by_value
      - .offset:         124
        .size:           4
        .value_kind:     by_value
      - .offset:         128
        .size:           4
        .value_kind:     by_value
      - .offset:         132
        .size:           4
        .value_kind:     by_value
      - .offset:         136
        .size:           4
        .value_kind:     by_value
      - .offset:         140
        .size:           4
        .value_kind:     by_value
      - .offset:         144
        .size:           4
        .value_kind:     by_value
      - .offset:         152
        .size:           8
        .value_kind:     by_value
      - .offset:         160
        .size:           4
        .value_kind:     by_value
      - .offset:         164
        .size:           4
        .value_kind:     by_value
      - .offset:         168
        .size:           8
        .value_kind:     by_value
      - .offset:         176
        .size:           4
        .value_kind:     by_value
      - .offset:         180
        .size:           4
        .value_kind:     by_value
      - .offset:         184
        .size:           4
        .value_kind:     by_value
      - .offset:         188
        .size:           4
        .value_kind:     by_value
      - .offset:         192
        .size:           4
        .value_kind:     by_value
      - .offset:         200
        .size:           8
        .value_kind:     by_value
      - .offset:         208
        .size:           4
        .value_kind:     hidden_block_count_x
      - .offset:         212
        .size:           4
        .value_kind:     hidden_block_count_y
      - .offset:         216
        .size:           4
        .value_kind:     hidden_block_count_z
      - .offset:         220
        .size:           2
        .value_kind:     hidden_group_size_x
      - .offset:         222
        .size:           2
        .value_kind:     hidden_group_size_y
      - .offset:         224
        .size:           2
        .value_kind:     hidden_group_size_z
      - .offset:         226
        .size:           2
        .value_kind:     hidden_remainder_x
      - .offset:         228
        .size:           2
        .value_kind:     hidden_remainder_y
      - .offset:         230
        .size:           2
        .value_kind:     hidden_remainder_z
      - .offset:         248
        .size:           8
        .value_kind:     hidden_global_offset_x
      - .offset:         256
        .size:           8
        .value_kind:     hidden_global_offset_y
      - .offset:         264
        .size:           8
        .value_kind:     hidden_global_offset_z
      - .offset:         272
        .size:           2
        .value_kind:     hidden_grid_dims
    .group_segment_fixed_size: 8448
    .kernarg_segment_align: 8
    .kernarg_segment_size: 464
    .language:       OpenCL C
    .language_version:
      - 2
      - 0
    .max_flat_workgroup_size: 128
    .name:           _ZL18flash_attn_ext_vecILi256ELi1EL9ggml_type30ELS0_1ELb1EEvPKcS2_S2_S2_S2_PKiPfP15HIP_vector_typeIfLj2EEffffjfiS6_IjLj3EEiiiiiiiiiiiliiliiiiil
    .private_segment_fixed_size: 0
    .sgpr_count:     50
    .sgpr_spill_count: 0
    .symbol:         _ZL18flash_attn_ext_vecILi256ELi1EL9ggml_type30ELS0_1ELb1EEvPKcS2_S2_S2_S2_PKiPfP15HIP_vector_typeIfLj2EEffffjfiS6_IjLj3EEiiiiiiiiiiiliiliiiiil.kd
    .uniform_work_group_size: 1
    .uses_dynamic_stack: false
    .vgpr_count:     240
    .vgpr_spill_count: 0
    .wavefront_size: 32
    .workgroup_processor_mode: 1
  - .args:
      - .address_space:  global
        .offset:         0
        .size:           8
        .value_kind:     global_buffer
      - .address_space:  global
        .offset:         8
        .size:           8
        .value_kind:     global_buffer
      - .address_space:  global
        .offset:         16
        .size:           8
        .value_kind:     global_buffer
      - .address_space:  global
        .offset:         24
        .size:           8
        .value_kind:     global_buffer
      - .address_space:  global
        .offset:         32
        .size:           8
        .value_kind:     global_buffer
      - .address_space:  global
        .offset:         40
        .size:           8
        .value_kind:     global_buffer
      - .address_space:  global
        .offset:         48
        .size:           8
        .value_kind:     global_buffer
      - .address_space:  global
        .offset:         56
        .size:           8
        .value_kind:     global_buffer
      - .offset:         64
        .size:           4
        .value_kind:     by_value
      - .offset:         68
        .size:           4
        .value_kind:     by_value
      - .offset:         72
        .size:           4
        .value_kind:     by_value
      - .offset:         76
        .size:           4
        .value_kind:     by_value
      - .offset:         80
        .size:           4
        .value_kind:     by_value
      - .offset:         84
        .size:           4
        .value_kind:     by_value
      - .offset:         88
        .size:           4
        .value_kind:     by_value
      - .offset:         92
        .size:           12
        .value_kind:     by_value
      - .offset:         104
        .size:           4
        .value_kind:     by_value
      - .offset:         108
        .size:           4
        .value_kind:     by_value
      - .offset:         112
        .size:           4
        .value_kind:     by_value
      - .offset:         116
        .size:           4
        .value_kind:     by_value
      - .offset:         120
        .size:           4
        .value_kind:     by_value
      - .offset:         124
        .size:           4
        .value_kind:     by_value
      - .offset:         128
        .size:           4
        .value_kind:     by_value
      - .offset:         132
        .size:           4
        .value_kind:     by_value
      - .offset:         136
        .size:           4
        .value_kind:     by_value
      - .offset:         140
        .size:           4
        .value_kind:     by_value
      - .offset:         144
        .size:           4
        .value_kind:     by_value
      - .offset:         152
        .size:           8
        .value_kind:     by_value
      - .offset:         160
        .size:           4
        .value_kind:     by_value
      - .offset:         164
        .size:           4
        .value_kind:     by_value
      - .offset:         168
        .size:           8
        .value_kind:     by_value
      - .offset:         176
        .size:           4
        .value_kind:     by_value
      - .offset:         180
        .size:           4
        .value_kind:     by_value
      - .offset:         184
        .size:           4
        .value_kind:     by_value
      - .offset:         188
        .size:           4
        .value_kind:     by_value
      - .offset:         192
        .size:           4
        .value_kind:     by_value
      - .offset:         200
        .size:           8
        .value_kind:     by_value
      - .offset:         208
        .size:           4
        .value_kind:     hidden_block_count_x
      - .offset:         212
        .size:           4
        .value_kind:     hidden_block_count_y
      - .offset:         216
        .size:           4
        .value_kind:     hidden_block_count_z
      - .offset:         220
        .size:           2
        .value_kind:     hidden_group_size_x
      - .offset:         222
        .size:           2
        .value_kind:     hidden_group_size_y
      - .offset:         224
        .size:           2
        .value_kind:     hidden_group_size_z
      - .offset:         226
        .size:           2
        .value_kind:     hidden_remainder_x
      - .offset:         228
        .size:           2
        .value_kind:     hidden_remainder_y
      - .offset:         230
        .size:           2
        .value_kind:     hidden_remainder_z
      - .offset:         248
        .size:           8
        .value_kind:     hidden_global_offset_x
      - .offset:         256
        .size:           8
        .value_kind:     hidden_global_offset_y
      - .offset:         264
        .size:           8
        .value_kind:     hidden_global_offset_z
      - .offset:         272
        .size:           2
        .value_kind:     hidden_grid_dims
    .group_segment_fixed_size: 8704
    .kernarg_segment_align: 8
    .kernarg_segment_size: 464
    .language:       OpenCL C
    .language_version:
      - 2
      - 0
    .max_flat_workgroup_size: 128
    .name:           _ZL18flash_attn_ext_vecILi256ELi2EL9ggml_type30ELS0_1ELb0EEvPKcS2_S2_S2_S2_PKiPfP15HIP_vector_typeIfLj2EEffffjfiS6_IjLj3EEiiiiiiiiiiiliiliiiiil
    .private_segment_fixed_size: 272
    .sgpr_count:     54
    .sgpr_spill_count: 0
    .symbol:         _ZL18flash_attn_ext_vecILi256ELi2EL9ggml_type30ELS0_1ELb0EEvPKcS2_S2_S2_S2_PKiPfP15HIP_vector_typeIfLj2EEffffjfiS6_IjLj3EEiiiiiiiiiiiliiliiiiil.kd
    .uniform_work_group_size: 1
    .uses_dynamic_stack: false
    .vgpr_count:     256
    .vgpr_spill_count: 34
    .wavefront_size: 32
    .workgroup_processor_mode: 1
  - .args:
      - .address_space:  global
        .offset:         0
        .size:           8
        .value_kind:     global_buffer
      - .address_space:  global
        .offset:         8
        .size:           8
        .value_kind:     global_buffer
      - .offset:         16
        .size:           4
        .value_kind:     by_value
      - .offset:         20
        .size:           4
        .value_kind:     by_value
      - .offset:         24
        .size:           4
        .value_kind:     by_value
      - .offset:         28
        .size:           4
        .value_kind:     by_value
      - .offset:         32
        .size:           4
        .value_kind:     by_value
      - .offset:         36
        .size:           4
        .value_kind:     by_value
      - .offset:         40
        .size:           12
        .value_kind:     by_value
      - .offset:         52
        .size:           12
        .value_kind:     by_value
      - .offset:         64
        .size:           12
        .value_kind:     by_value
    .group_segment_fixed_size: 0
    .kernarg_segment_align: 8
    .kernarg_segment_size: 76
    .language:       OpenCL C
    .language_version:
      - 2
      - 0
    .max_flat_workgroup_size: 256
    .name:           _ZL33flash_attn_stream_k_fixup_uniformILi256ELi2ELi1EEvPfPK15HIP_vector_typeIfLj2EEiiiiiiS1_IjLj3EES5_S5_
    .private_segment_fixed_size: 0
    .sgpr_count:     22
    .sgpr_spill_count: 0
    .symbol:         _ZL33flash_attn_stream_k_fixup_uniformILi256ELi2ELi1EEvPfPK15HIP_vector_typeIfLj2EEiiiiiiS1_IjLj3EES5_S5_.kd
    .uniform_work_group_size: 1
    .uses_dynamic_stack: false
    .vgpr_count:     15
    .vgpr_spill_count: 0
    .wavefront_size: 32
    .workgroup_processor_mode: 1
  - .args:
      - .address_space:  global
        .offset:         0
        .size:           8
        .value_kind:     global_buffer
      - .address_space:  global
        .offset:         8
        .size:           8
        .value_kind:     global_buffer
      - .offset:         16
        .size:           4
        .value_kind:     by_value
      - .offset:         20
        .size:           4
        .value_kind:     by_value
      - .offset:         24
        .size:           4
        .value_kind:     by_value
      - .offset:         28
        .size:           4
        .value_kind:     by_value
      - .offset:         32
        .size:           12
        .value_kind:     by_value
      - .offset:         44
        .size:           12
        .value_kind:     by_value
      - .offset:         56
        .size:           12
        .value_kind:     by_value
      - .offset:         68
        .size:           12
        .value_kind:     by_value
      - .offset:         80
        .size:           4
        .value_kind:     hidden_block_count_x
      - .offset:         84
        .size:           4
        .value_kind:     hidden_block_count_y
      - .offset:         88
        .size:           4
        .value_kind:     hidden_block_count_z
      - .offset:         92
        .size:           2
        .value_kind:     hidden_group_size_x
      - .offset:         94
        .size:           2
        .value_kind:     hidden_group_size_y
      - .offset:         96
        .size:           2
        .value_kind:     hidden_group_size_z
      - .offset:         98
        .size:           2
        .value_kind:     hidden_remainder_x
      - .offset:         100
        .size:           2
        .value_kind:     hidden_remainder_y
      - .offset:         102
        .size:           2
        .value_kind:     hidden_remainder_z
      - .offset:         120
        .size:           8
        .value_kind:     hidden_global_offset_x
      - .offset:         128
        .size:           8
        .value_kind:     hidden_global_offset_y
      - .offset:         136
        .size:           8
        .value_kind:     hidden_global_offset_z
      - .offset:         144
        .size:           2
        .value_kind:     hidden_grid_dims
    .group_segment_fixed_size: 0
    .kernarg_segment_align: 8
    .kernarg_segment_size: 336
    .language:       OpenCL C
    .language_version:
      - 2
      - 0
    .max_flat_workgroup_size: 256
    .name:           _ZL33flash_attn_stream_k_fixup_generalILi256ELi2ELi1EEvPfPK15HIP_vector_typeIfLj2EEiiiiS1_IjLj3EES5_S5_S5_
    .private_segment_fixed_size: 0
    .sgpr_count:     34
    .sgpr_spill_count: 0
    .symbol:         _ZL33flash_attn_stream_k_fixup_generalILi256ELi2ELi1EEvPfPK15HIP_vector_typeIfLj2EEiiiiS1_IjLj3EES5_S5_S5_.kd
    .uniform_work_group_size: 1
    .uses_dynamic_stack: false
    .vgpr_count:     19
    .vgpr_spill_count: 0
    .wavefront_size: 32
    .workgroup_processor_mode: 1
  - .args:
      - .address_space:  global
        .offset:         0
        .size:           8
        .value_kind:     global_buffer
      - .address_space:  global
        .offset:         8
        .size:           8
        .value_kind:     global_buffer
      - .address_space:  global
        .offset:         16
        .size:           8
        .value_kind:     global_buffer
      - .address_space:  global
        .offset:         24
        .size:           8
        .value_kind:     global_buffer
      - .address_space:  global
        .offset:         32
        .size:           8
        .value_kind:     global_buffer
      - .address_space:  global
        .offset:         40
        .size:           8
        .value_kind:     global_buffer
      - .address_space:  global
        .offset:         48
        .size:           8
        .value_kind:     global_buffer
      - .address_space:  global
        .offset:         56
        .size:           8
        .value_kind:     global_buffer
      - .offset:         64
        .size:           4
        .value_kind:     by_value
      - .offset:         68
        .size:           4
        .value_kind:     by_value
      - .offset:         72
        .size:           4
        .value_kind:     by_value
      - .offset:         76
        .size:           4
        .value_kind:     by_value
      - .offset:         80
        .size:           4
        .value_kind:     by_value
      - .offset:         84
        .size:           4
        .value_kind:     by_value
      - .offset:         88
        .size:           4
        .value_kind:     by_value
      - .offset:         92
        .size:           12
        .value_kind:     by_value
      - .offset:         104
        .size:           4
        .value_kind:     by_value
      - .offset:         108
        .size:           4
        .value_kind:     by_value
      - .offset:         112
        .size:           4
        .value_kind:     by_value
      - .offset:         116
        .size:           4
        .value_kind:     by_value
      - .offset:         120
        .size:           4
        .value_kind:     by_value
      - .offset:         124
        .size:           4
        .value_kind:     by_value
      - .offset:         128
        .size:           4
        .value_kind:     by_value
      - .offset:         132
        .size:           4
        .value_kind:     by_value
      - .offset:         136
        .size:           4
        .value_kind:     by_value
      - .offset:         140
        .size:           4
        .value_kind:     by_value
      - .offset:         144
        .size:           4
        .value_kind:     by_value
      - .offset:         152
        .size:           8
        .value_kind:     by_value
      - .offset:         160
        .size:           4
        .value_kind:     by_value
      - .offset:         164
        .size:           4
        .value_kind:     by_value
      - .offset:         168
        .size:           8
        .value_kind:     by_value
      - .offset:         176
        .size:           4
        .value_kind:     by_value
      - .offset:         180
        .size:           4
        .value_kind:     by_value
      - .offset:         184
        .size:           4
        .value_kind:     by_value
      - .offset:         188
        .size:           4
        .value_kind:     by_value
      - .offset:         192
        .size:           4
        .value_kind:     by_value
      - .offset:         200
        .size:           8
        .value_kind:     by_value
      - .offset:         208
        .size:           4
        .value_kind:     hidden_block_count_x
      - .offset:         212
        .size:           4
        .value_kind:     hidden_block_count_y
      - .offset:         216
        .size:           4
        .value_kind:     hidden_block_count_z
      - .offset:         220
        .size:           2
        .value_kind:     hidden_group_size_x
      - .offset:         222
        .size:           2
        .value_kind:     hidden_group_size_y
      - .offset:         224
        .size:           2
        .value_kind:     hidden_group_size_z
      - .offset:         226
        .size:           2
        .value_kind:     hidden_remainder_x
      - .offset:         228
        .size:           2
        .value_kind:     hidden_remainder_y
      - .offset:         230
        .size:           2
        .value_kind:     hidden_remainder_z
      - .offset:         248
        .size:           8
        .value_kind:     hidden_global_offset_x
      - .offset:         256
        .size:           8
        .value_kind:     hidden_global_offset_y
      - .offset:         264
        .size:           8
        .value_kind:     hidden_global_offset_z
      - .offset:         272
        .size:           2
        .value_kind:     hidden_grid_dims
    .group_segment_fixed_size: 8704
    .kernarg_segment_align: 8
    .kernarg_segment_size: 464
    .language:       OpenCL C
    .language_version:
      - 2
      - 0
    .max_flat_workgroup_size: 128
    .name:           _ZL18flash_attn_ext_vecILi256ELi2EL9ggml_type30ELS0_1ELb1EEvPKcS2_S2_S2_S2_PKiPfP15HIP_vector_typeIfLj2EEffffjfiS6_IjLj3EEiiiiiiiiiiiliiliiiiil
    .private_segment_fixed_size: 272
    .sgpr_count:     54
    .sgpr_spill_count: 0
    .symbol:         _ZL18flash_attn_ext_vecILi256ELi2EL9ggml_type30ELS0_1ELb1EEvPKcS2_S2_S2_S2_PKiPfP15HIP_vector_typeIfLj2EEffffjfiS6_IjLj3EEiiiiiiiiiiiliiliiiiil.kd
    .uniform_work_group_size: 1
    .uses_dynamic_stack: false
    .vgpr_count:     256
    .vgpr_spill_count: 34
    .wavefront_size: 32
    .workgroup_processor_mode: 1
amdhsa.target:   amdgcn-amd-amdhsa--gfx1100
amdhsa.version:
  - 1
  - 2
...

	.end_amdgpu_metadata
